;; amdgpu-corpus repo=ROCm/rocFFT kind=compiled arch=gfx906 opt=O3
	.text
	.amdgcn_target "amdgcn-amd-amdhsa--gfx906"
	.amdhsa_code_object_version 6
	.protected	bluestein_single_fwd_len770_dim1_sp_op_CI_CI ; -- Begin function bluestein_single_fwd_len770_dim1_sp_op_CI_CI
	.globl	bluestein_single_fwd_len770_dim1_sp_op_CI_CI
	.p2align	8
	.type	bluestein_single_fwd_len770_dim1_sp_op_CI_CI,@function
bluestein_single_fwd_len770_dim1_sp_op_CI_CI: ; @bluestein_single_fwd_len770_dim1_sp_op_CI_CI
; %bb.0:
	s_load_dwordx4 s[0:3], s[4:5], 0x28
	v_mul_u32_u24_e32 v1, 0x254, v0
	v_lshrrev_b32_e32 v1, 16, v1
	v_lshl_add_u32 v52, s6, 1, v1
	v_mov_b32_e32 v53, 0
	s_waitcnt lgkmcnt(0)
	v_cmp_gt_u64_e32 vcc, s[0:1], v[52:53]
	s_and_saveexec_b64 s[0:1], vcc
	s_cbranch_execz .LBB0_23
; %bb.1:
	s_load_dwordx2 s[10:11], s[4:5], 0x0
	s_load_dwordx2 s[8:9], s[4:5], 0x38
	v_mul_lo_u16_e32 v2, 0x6e, v1
	v_sub_u16_e32 v55, v0, v2
	v_and_b32_e32 v0, 1, v1
	v_mov_b32_e32 v1, 0x302
	v_cmp_eq_u32_e32 vcc, 1, v0
	v_cndmask_b32_e32 v36, 0, v1, vcc
	s_movk_i32 s0, 0x46
	v_cmp_gt_u16_e64 s[0:1], s0, v55
	v_lshlrev_b32_e32 v56, 3, v55
	v_lshlrev_b32_e32 v57, 3, v36
	s_and_saveexec_b64 s[6:7], s[0:1]
	s_cbranch_execz .LBB0_3
; %bb.2:
	s_load_dwordx2 s[12:13], s[4:5], 0x18
	s_waitcnt lgkmcnt(0)
	v_mov_b32_e32 v24, s11
	s_load_dwordx4 s[12:15], s[12:13], 0x0
	s_waitcnt lgkmcnt(0)
	v_mad_u64_u32 v[0:1], s[16:17], s14, v52, 0
	v_mad_u64_u32 v[2:3], s[16:17], s12, v55, 0
	;; [unrolled: 1-line block ×4, first 2 shown]
	v_mov_b32_e32 v1, v4
	v_lshlrev_b64 v[0:1], 3, v[0:1]
	v_mov_b32_e32 v3, v5
	v_mov_b32_e32 v6, s3
	v_lshlrev_b64 v[2:3], 3, v[2:3]
	v_add_co_u32_e32 v0, vcc, s2, v0
	v_addc_co_u32_e32 v1, vcc, v6, v1, vcc
	v_add_co_u32_e32 v0, vcc, v0, v2
	s_mul_i32 s2, s13, 0x230
	s_mul_hi_u32 s3, s12, 0x230
	v_addc_co_u32_e32 v1, vcc, v1, v3, vcc
	s_add_i32 s3, s3, s2
	s_mul_i32 s2, s12, 0x230
	v_mov_b32_e32 v3, s3
	v_add_co_u32_e32 v2, vcc, s2, v0
	v_addc_co_u32_e32 v3, vcc, v1, v3, vcc
	v_mov_b32_e32 v5, s3
	v_add_co_u32_e32 v4, vcc, s2, v2
	v_addc_co_u32_e32 v5, vcc, v3, v5, vcc
	v_add_co_u32_e32 v25, vcc, s10, v56
	s_movk_i32 s12, 0x1000
	v_addc_co_u32_e32 v26, vcc, 0, v24, vcc
	v_add_co_u32_e32 v24, vcc, s12, v25
	v_addc_co_u32_e32 v25, vcc, 0, v26, vcc
	global_load_dwordx2 v[6:7], v[0:1], off
	global_load_dwordx2 v[8:9], v[2:3], off
	;; [unrolled: 1-line block ×3, first 2 shown]
	v_mov_b32_e32 v26, s3
	v_add_co_u32_e32 v4, vcc, s2, v4
	v_addc_co_u32_e32 v5, vcc, v5, v26, vcc
	global_load_dwordx2 v[0:1], v56, s[10:11]
	global_load_dwordx2 v[2:3], v56, s[10:11] offset:560
	global_load_dwordx2 v[12:13], v56, s[10:11] offset:1120
	;; [unrolled: 1-line block ×7, first 2 shown]
	v_mov_b32_e32 v28, s3
	global_load_dwordx2 v[26:27], v[4:5], off
	v_add_co_u32_e32 v4, vcc, s2, v4
	v_addc_co_u32_e32 v5, vcc, v5, v28, vcc
	v_mov_b32_e32 v30, s3
	global_load_dwordx2 v[28:29], v[4:5], off
	v_add_co_u32_e32 v4, vcc, s2, v4
	v_addc_co_u32_e32 v5, vcc, v5, v30, vcc
	;; [unrolled: 4-line block ×5, first 2 shown]
	global_load_dwordx2 v[37:38], v[4:5], off
	global_load_dwordx2 v[39:40], v[24:25], off offset:384
	v_mov_b32_e32 v41, s3
	v_add_co_u32_e32 v4, vcc, s2, v4
	v_addc_co_u32_e32 v5, vcc, v5, v41, vcc
	global_load_dwordx2 v[41:42], v[4:5], off
	v_mov_b32_e32 v45, s3
	v_add_co_u32_e32 v4, vcc, s2, v4
	v_addc_co_u32_e32 v5, vcc, v5, v45, vcc
	global_load_dwordx2 v[43:44], v[24:25], off offset:944
	global_load_dwordx2 v[45:46], v[4:5], off
	global_load_dwordx2 v[47:48], v[24:25], off offset:1504
	s_waitcnt vmcnt(18)
	v_mul_f32_e32 v4, v7, v1
	v_mul_f32_e32 v1, v6, v1
	v_fmac_f32_e32 v4, v6, v0
	v_fma_f32 v5, v7, v0, -v1
	s_waitcnt vmcnt(17)
	v_mul_f32_e32 v0, v9, v3
	v_mul_f32_e32 v1, v8, v3
	v_fmac_f32_e32 v0, v8, v2
	v_fma_f32 v1, v9, v2, -v1
	s_waitcnt vmcnt(16)
	v_mul_f32_e32 v2, v11, v13
	v_mul_f32_e32 v3, v10, v13
	v_lshl_add_u32 v6, v55, 3, v57
	v_fmac_f32_e32 v2, v10, v12
	v_fma_f32 v3, v11, v12, -v3
	ds_write_b64 v6, v[4:5]
	v_add_u32_e32 v4, v57, v56
	ds_write2_b64 v4, v[0:1], v[2:3] offset0:70 offset1:140
	s_waitcnt vmcnt(10)
	v_mul_f32_e32 v0, v27, v15
	v_mul_f32_e32 v1, v26, v15
	s_waitcnt vmcnt(9)
	v_mul_f32_e32 v2, v29, v17
	v_mul_f32_e32 v3, v28, v17
	v_fmac_f32_e32 v0, v26, v14
	v_fma_f32 v1, v27, v14, -v1
	v_fmac_f32_e32 v2, v28, v16
	v_fma_f32 v3, v29, v16, -v3
	v_add_u32_e32 v5, 0x400, v4
	ds_write2_b64 v5, v[0:1], v[2:3] offset0:82 offset1:152
	s_waitcnt vmcnt(8)
	v_mul_f32_e32 v0, v31, v19
	v_mul_f32_e32 v1, v30, v19
	s_waitcnt vmcnt(7)
	v_mul_f32_e32 v2, v33, v21
	v_mul_f32_e32 v3, v32, v21
	v_fmac_f32_e32 v0, v30, v18
	v_fma_f32 v1, v31, v18, -v1
	v_fmac_f32_e32 v2, v32, v20
	v_fma_f32 v3, v33, v20, -v3
	;; [unrolled: 12-line block ×3, first 2 shown]
	v_add_u32_e32 v5, 0xc00, v4
	ds_write2_b64 v5, v[0:1], v[2:3] offset0:106 offset1:176
	v_add_u32_e32 v4, 0x1000, v4
	s_waitcnt vmcnt(2)
	v_mul_f32_e32 v0, v42, v44
	v_mul_f32_e32 v1, v41, v44
	s_waitcnt vmcnt(0)
	v_mul_f32_e32 v2, v46, v48
	v_mul_f32_e32 v3, v45, v48
	v_fmac_f32_e32 v0, v41, v43
	v_fma_f32 v1, v42, v43, -v1
	v_fmac_f32_e32 v2, v45, v47
	v_fma_f32 v3, v46, v47, -v3
	ds_write2_b64 v4, v[0:1], v[2:3] offset0:118 offset1:188
.LBB0_3:
	s_or_b64 exec, exec, s[6:7]
	v_mov_b32_e32 v16, 0
	v_mov_b32_e32 v17, 0
	s_waitcnt lgkmcnt(0)
	s_barrier
	s_waitcnt lgkmcnt(0)
                                        ; implicit-def: $vgpr0
                                        ; implicit-def: $vgpr12
                                        ; implicit-def: $vgpr20
                                        ; implicit-def: $vgpr6
                                        ; implicit-def: $vgpr10
	s_and_saveexec_b64 s[2:3], s[0:1]
	s_cbranch_execz .LBB0_5
; %bb.4:
	v_lshl_add_u32 v20, v36, 3, v56
	v_add_u32_e32 v0, 0x800, v20
	v_add_u32_e32 v12, 0x1000, v20
	ds_read2_b64 v[16:19], v20 offset1:70
	ds_read2_b64 v[8:11], v20 offset0:140 offset1:210
	ds_read2_b64 v[4:7], v0 offset0:24 offset1:94
	;; [unrolled: 1-line block ×4, first 2 shown]
	ds_read_b64 v[20:21], v20 offset:5600
.LBB0_5:
	s_or_b64 exec, exec, s[2:3]
	s_waitcnt lgkmcnt(0)
	v_sub_f32_e32 v24, v18, v20
	v_sub_f32_e32 v25, v19, v21
	v_mul_f32_e32 v28, 0xbf0a6770, v24
	v_mul_f32_e32 v32, 0xbf68dda4, v24
	;; [unrolled: 1-line block ×4, first 2 shown]
	v_add_f32_e32 v22, v20, v18
	v_add_f32_e32 v23, v21, v19
	v_mul_f32_e32 v26, 0xbf0a6770, v25
	s_mov_b32 s6, 0x3f575c64
	v_mov_b32_e32 v29, v28
	v_mul_f32_e32 v30, 0xbf68dda4, v25
	s_mov_b32 s2, 0x3ed4b147
	v_mov_b32_e32 v33, v32
	;; [unrolled: 3-line block ×4, first 2 shown]
	v_mul_f32_e32 v25, 0xbe903f40, v25
	s_mov_b32 s14, 0xbf75a155
	v_mul_f32_e32 v24, 0xbe903f40, v24
	v_fma_f32 v27, v22, s6, -v26
	v_fmac_f32_e32 v29, 0x3f575c64, v23
	v_fmac_f32_e32 v26, 0x3f575c64, v22
	v_fma_f32 v31, v22, s2, -v30
	v_fmac_f32_e32 v33, 0x3ed4b147, v23
	v_fmac_f32_e32 v30, 0x3ed4b147, v22
	;; [unrolled: 3-line block ×4, first 2 shown]
	v_fma_f32 v43, v22, s14, -v25
	v_fmac_f32_e32 v25, 0xbf75a155, v22
	v_mov_b32_e32 v22, v24
	v_fma_f32 v28, v23, s6, -v28
	v_fma_f32 v32, v23, s2, -v32
	;; [unrolled: 1-line block ×4, first 2 shown]
	v_fmac_f32_e32 v22, 0xbf75a155, v23
	v_fma_f32 v23, v23, s14, -v24
	v_add_f32_e32 v18, v18, v16
	v_add_f32_e32 v24, v27, v16
	;; [unrolled: 1-line block ×41, first 2 shown]
	v_sub_f32_e32 v8, v8, v14
	v_sub_f32_e32 v19, v9, v15
	v_mul_f32_e32 v14, 0xbf68dda4, v8
	v_mul_f32_e32 v20, 0xbf68dda4, v19
	v_add_f32_e32 v9, v15, v9
	v_mov_b32_e32 v15, v14
	v_fma_f32 v21, v18, s2, -v20
	v_fmac_f32_e32 v15, 0x3ed4b147, v9
	v_add_f32_e32 v21, v21, v24
	v_add_f32_e32 v15, v15, v27
	v_fmac_f32_e32 v20, 0x3ed4b147, v18
	v_fma_f32 v14, v9, s2, -v14
	v_mul_f32_e32 v24, 0xbf4178ce, v19
	v_mul_f32_e32 v27, 0xbf4178ce, v8
	v_add_f32_e32 v20, v20, v26
	v_add_f32_e32 v14, v14, v28
	v_fma_f32 v26, v18, s7, -v24
	v_mov_b32_e32 v28, v27
	v_add_f32_e32 v26, v26, v29
	v_fmac_f32_e32 v28, 0xbf27a4f4, v9
	v_fmac_f32_e32 v24, 0xbf27a4f4, v18
	v_mul_f32_e32 v29, 0x3e903f40, v19
	v_add_f32_e32 v28, v28, v31
	v_add_f32_e32 v24, v24, v30
	v_fma_f32 v27, v9, s7, -v27
	v_fma_f32 v30, v18, s14, -v29
	v_mul_f32_e32 v31, 0x3e903f40, v8
	v_add_f32_e32 v27, v27, v32
	v_add_f32_e32 v30, v30, v33
	v_mov_b32_e32 v32, v31
	v_fmac_f32_e32 v29, 0xbf75a155, v18
	v_mul_f32_e32 v33, 0x3f7d64f0, v19
	v_fmac_f32_e32 v32, 0xbf75a155, v9
	v_add_f32_e32 v29, v29, v34
	v_fma_f32 v34, v18, s3, -v33
	v_mul_f32_e32 v19, 0x3f0a6770, v19
	v_add_f32_e32 v32, v32, v35
	v_fma_f32 v31, v9, s14, -v31
	v_add_f32_e32 v34, v34, v38
	v_mul_f32_e32 v35, 0x3f7d64f0, v8
	v_fmac_f32_e32 v33, 0xbe11bafb, v18
	v_fma_f32 v38, v18, s6, -v19
	v_mul_f32_e32 v8, 0x3f0a6770, v8
	v_fmac_f32_e32 v19, 0x3f575c64, v18
	v_add_f32_e32 v31, v31, v37
	v_mov_b32_e32 v37, v35
	v_add_f32_e32 v33, v33, v39
	v_mov_b32_e32 v39, v8
	v_add_f32_e32 v18, v19, v25
	v_add_f32_e32 v19, v13, v11
	v_sub_f32_e32 v11, v11, v13
	v_fmac_f32_e32 v37, 0xbe11bafb, v9
	v_fma_f32 v35, v9, s3, -v35
	v_fmac_f32_e32 v39, 0x3f575c64, v9
	v_fma_f32 v8, v9, s6, -v8
	v_add_f32_e32 v9, v12, v10
	v_sub_f32_e32 v10, v10, v12
	v_mul_f32_e32 v12, 0xbf7d64f0, v11
	v_fma_f32 v13, v9, s3, -v12
	v_add_f32_e32 v13, v13, v21
	v_mul_f32_e32 v21, 0xbf7d64f0, v10
	v_fmac_f32_e32 v12, 0xbe11bafb, v9
	v_add_f32_e32 v12, v12, v20
	v_fma_f32 v20, v19, s3, -v21
	v_add_f32_e32 v8, v8, v23
	v_mov_b32_e32 v23, v21
	v_add_f32_e32 v14, v20, v14
	v_mul_f32_e32 v20, 0x3e903f40, v11
	v_fmac_f32_e32 v23, 0xbe11bafb, v19
	v_fma_f32 v21, v9, s14, -v20
	v_fmac_f32_e32 v20, 0xbf75a155, v9
	v_add_f32_e32 v15, v23, v15
	v_mul_f32_e32 v23, 0x3e903f40, v10
	v_add_f32_e32 v20, v20, v24
	v_mul_f32_e32 v24, 0x3f68dda4, v11
	v_add_f32_e32 v21, v21, v26
	v_mov_b32_e32 v25, v23
	v_fma_f32 v23, v19, s14, -v23
	v_fma_f32 v26, v9, s2, -v24
	v_fmac_f32_e32 v24, 0x3ed4b147, v9
	v_fmac_f32_e32 v25, 0xbf75a155, v19
	v_add_f32_e32 v23, v23, v27
	v_mul_f32_e32 v27, 0x3f68dda4, v10
	v_add_f32_e32 v24, v24, v29
	v_mul_f32_e32 v29, 0xbf0a6770, v11
	v_add_f32_e32 v25, v25, v28
	v_add_f32_e32 v26, v26, v30
	v_mov_b32_e32 v28, v27
	v_fma_f32 v27, v19, s2, -v27
	v_fma_f32 v30, v9, s6, -v29
	v_fmac_f32_e32 v29, 0x3f575c64, v9
	v_mul_f32_e32 v11, 0xbf4178ce, v11
	v_add_f32_e32 v27, v27, v31
	v_mul_f32_e32 v31, 0xbf0a6770, v10
	v_add_f32_e32 v29, v29, v33
	v_fma_f32 v33, v9, s7, -v11
	v_mul_f32_e32 v10, 0xbf4178ce, v10
	v_fmac_f32_e32 v11, 0xbf27a4f4, v9
	v_add_f32_e32 v30, v30, v34
	v_mov_b32_e32 v34, v10
	v_add_f32_e32 v9, v11, v18
	v_fma_f32 v10, v19, s7, -v10
	v_add_f32_e32 v11, v3, v5
	v_sub_f32_e32 v3, v5, v3
	v_add_f32_e32 v8, v10, v8
	v_add_f32_e32 v10, v2, v4
	v_sub_f32_e32 v2, v4, v2
	v_mul_f32_e32 v4, 0xbf4178ce, v3
	v_fma_f32 v5, v10, s7, -v4
	v_add_f32_e32 v5, v5, v13
	v_mul_f32_e32 v13, 0xbf4178ce, v2
	v_mov_b32_e32 v18, v13
	v_fmac_f32_e32 v28, 0x3ed4b147, v19
	v_fmac_f32_e32 v18, 0xbf27a4f4, v11
	v_add_f32_e32 v28, v28, v32
	v_mov_b32_e32 v32, v31
	v_add_f32_e32 v15, v18, v15
	v_fmac_f32_e32 v4, 0xbf27a4f4, v10
	v_mul_f32_e32 v18, 0x3f7d64f0, v2
	v_fmac_f32_e32 v32, 0x3f575c64, v19
	v_fma_f32 v31, v19, s6, -v31
	v_fmac_f32_e32 v34, 0xbf27a4f4, v19
	v_add_f32_e32 v4, v4, v12
	v_fma_f32 v12, v11, s7, -v13
	v_mul_f32_e32 v13, 0x3f7d64f0, v3
	v_mov_b32_e32 v19, v18
	v_fma_f32 v18, v11, s3, -v18
	v_add_f32_e32 v12, v12, v14
	v_fma_f32 v14, v10, s3, -v13
	v_fmac_f32_e32 v19, 0xbe11bafb, v11
	v_add_f32_e32 v23, v18, v23
	v_mul_f32_e32 v18, 0xbf0a6770, v3
	v_add_f32_e32 v14, v14, v21
	v_add_f32_e32 v21, v19, v25
	v_fma_f32 v19, v10, s6, -v18
	v_add_f32_e32 v25, v19, v26
	v_mul_f32_e32 v19, 0xbf0a6770, v2
	v_fmac_f32_e32 v18, 0x3f575c64, v10
	v_add_f32_e32 v22, v39, v22
	v_add_f32_e32 v24, v18, v24
	v_fma_f32 v18, v11, s6, -v19
	v_add_f32_e32 v22, v34, v22
	v_fmac_f32_e32 v13, 0xbe11bafb, v10
	v_add_f32_e32 v34, v18, v27
	v_mul_f32_e32 v18, 0xbe903f40, v3
	v_add_f32_e32 v13, v13, v20
	v_mov_b32_e32 v20, v19
	v_fma_f32 v19, v10, s14, -v18
	v_add_f32_e32 v35, v35, v41
	v_add_f32_e32 v30, v19, v30
	v_mul_f32_e32 v19, 0xbe903f40, v2
	v_fmac_f32_e32 v18, 0xbf75a155, v10
	v_add_f32_e32 v38, v38, v42
	v_add_f32_e32 v31, v31, v35
	;; [unrolled: 1-line block ×3, first 2 shown]
	v_fma_f32 v18, v11, s14, -v19
	v_mul_f32_e32 v3, 0x3f68dda4, v3
	v_add_f32_e32 v33, v33, v38
	v_add_f32_e32 v31, v18, v31
	v_fma_f32 v18, v10, s2, -v3
	v_mul_f32_e32 v2, 0x3f68dda4, v2
	v_fmac_f32_e32 v3, 0x3ed4b147, v10
	v_add_f32_e32 v33, v18, v33
	v_mov_b32_e32 v18, v2
	v_add_f32_e32 v3, v3, v9
	v_fma_f32 v2, v11, s2, -v2
	v_add_f32_e32 v9, v1, v7
	v_sub_f32_e32 v1, v7, v1
	v_add_f32_e32 v2, v2, v8
	v_add_f32_e32 v8, v0, v6
	v_sub_f32_e32 v0, v6, v0
	v_mul_f32_e32 v6, 0xbe903f40, v1
	v_add_f32_e32 v37, v37, v40
	v_fmac_f32_e32 v18, 0x3ed4b147, v11
	v_fma_f32 v7, v8, s14, -v6
	v_add_f32_e32 v32, v32, v37
	v_add_f32_e32 v37, v18, v22
	;; [unrolled: 1-line block ×3, first 2 shown]
	v_mul_f32_e32 v5, 0xbe903f40, v0
	v_fmac_f32_e32 v6, 0xbf75a155, v8
	v_fmac_f32_e32 v20, 0x3f575c64, v11
	v_add_f32_e32 v50, v6, v4
	v_fma_f32 v4, v9, s14, -v5
	v_add_f32_e32 v28, v20, v28
	v_mov_b32_e32 v20, v19
	v_add_f32_e32 v51, v4, v12
	v_mul_f32_e32 v4, 0x3f0a6770, v1
	v_fmac_f32_e32 v20, 0xbf75a155, v11
	v_mov_b32_e32 v7, v5
	v_fma_f32 v5, v8, s6, -v4
	v_add_f32_e32 v32, v20, v32
	v_add_f32_e32 v20, v5, v14
	v_mul_f32_e32 v5, 0x3f0a6770, v0
	v_fmac_f32_e32 v4, 0x3f575c64, v8
	v_add_f32_e32 v26, v4, v13
	v_fma_f32 v4, v9, s6, -v5
	v_add_f32_e32 v27, v4, v23
	v_mul_f32_e32 v4, 0xbf4178ce, v1
	v_mov_b32_e32 v6, v5
	v_fma_f32 v5, v8, s7, -v4
	v_add_f32_e32 v22, v5, v25
	v_mul_f32_e32 v5, 0xbf4178ce, v0
	v_fmac_f32_e32 v4, 0xbf27a4f4, v8
	v_fmac_f32_e32 v6, 0x3f575c64, v9
	v_add_f32_e32 v24, v4, v24
	v_fma_f32 v4, v9, s7, -v5
	v_add_f32_e32 v21, v6, v21
	v_mov_b32_e32 v6, v5
	v_add_f32_e32 v25, v4, v34
	v_mul_f32_e32 v4, 0x3f68dda4, v1
	v_fmac_f32_e32 v6, 0xbf27a4f4, v9
	v_fma_f32 v5, v8, s2, -v4
	v_add_f32_e32 v23, v6, v28
	v_add_f32_e32 v28, v5, v30
	v_mul_f32_e32 v5, 0x3f68dda4, v0
	v_fmac_f32_e32 v4, 0x3ed4b147, v8
	s_load_dwordx2 s[12:13], s[4:5], 0x8
	v_add_f32_e32 v34, v4, v35
	v_fma_f32 v4, v9, s2, -v5
	v_mul_f32_e32 v1, 0xbf7d64f0, v1
	v_add_f32_e32 v35, v4, v31
	v_fma_f32 v4, v8, s3, -v1
	v_mul_f32_e32 v0, 0xbf7d64f0, v0
	v_mov_b32_e32 v6, v5
	v_add_f32_e32 v30, v4, v33
	v_mov_b32_e32 v4, v0
	v_fmac_f32_e32 v7, 0xbf75a155, v9
	v_fmac_f32_e32 v6, 0x3ed4b147, v9
	;; [unrolled: 1-line block ×4, first 2 shown]
	v_fma_f32 v0, v9, s3, -v0
	v_add_f32_e32 v19, v7, v15
	v_add_f32_e32 v29, v6, v32
	v_add_f32_e32 v31, v4, v37
	v_add_f32_e32 v32, v1, v3
	v_add_f32_e32 v33, v0, v2
	v_mul_lo_u16_e32 v62, 11, v55
	s_waitcnt lgkmcnt(0)
	s_barrier
	s_and_saveexec_b64 s[2:3], s[0:1]
	s_cbranch_execz .LBB0_7
; %bb.6:
	v_add_lshl_u32 v0, v36, v62, 3
	ds_write2_b64 v0, v[16:17], v[18:19] offset1:1
	ds_write2_b64 v0, v[20:21], v[22:23] offset0:2 offset1:3
	ds_write2_b64 v0, v[28:29], v[30:31] offset0:4 offset1:5
	;; [unrolled: 1-line block ×4, first 2 shown]
	ds_write_b64 v0, v[50:51] offset:80
.LBB0_7:
	s_or_b64 exec, exec, s[2:3]
	s_load_dwordx2 s[4:5], s[4:5], 0x20
	s_movk_i32 s2, 0x4d
	v_cmp_gt_u16_e64 s[2:3], s2, v55
	v_add_lshl_u32 v58, v36, v55, 3
	s_waitcnt lgkmcnt(0)
	s_barrier
	s_and_saveexec_b64 s[6:7], s[2:3]
	s_cbranch_execz .LBB0_9
; %bb.8:
	v_add_u32_e32 v0, 0x800, v58
	ds_read2_b64 v[16:19], v58 offset1:77
	ds_read2_b64 v[20:23], v58 offset0:154 offset1:231
	ds_read2_b64 v[28:31], v0 offset0:52 offset1:129
	v_add_u32_e32 v0, 0xc00, v58
	ds_read2_b64 v[32:35], v0 offset0:78 offset1:155
	v_add_u32_e32 v0, 0x1000, v58
	ds_read2_b64 v[24:27], v0 offset0:104 offset1:181
.LBB0_9:
	s_or_b64 exec, exec, s[6:7]
	s_movk_i32 s6, 0x75
	v_mul_lo_u16_sdwa v0, v55, s6 dst_sel:DWORD dst_unused:UNUSED_PAD src0_sel:BYTE_0 src1_sel:DWORD
	v_sub_u16_sdwa v1, v55, v0 dst_sel:DWORD dst_unused:UNUSED_PAD src0_sel:DWORD src1_sel:BYTE_1
	v_lshrrev_b16_e32 v1, 1, v1
	v_and_b32_e32 v1, 0x7f, v1
	v_add_u16_sdwa v0, v1, v0 dst_sel:DWORD dst_unused:UNUSED_PAD src0_sel:DWORD src1_sel:BYTE_1
	v_lshrrev_b16_e32 v59, 3, v0
	v_mul_lo_u16_e32 v0, 11, v59
	v_sub_u16_e32 v0, v55, v0
	v_and_b32_e32 v60, 0xff, v0
	v_mov_b32_e32 v0, s12
	s_movk_i32 s6, 0x48
	v_mov_b32_e32 v1, s13
	v_mad_u64_u32 v[37:38], s[6:7], v60, s6, v[0:1]
	global_load_dwordx4 v[0:3], v[37:38], off
	global_load_dwordx4 v[12:15], v[37:38], off offset:16
	global_load_dwordx4 v[8:11], v[37:38], off offset:32
	global_load_dwordx4 v[4:7], v[37:38], off offset:48
	global_load_dwordx2 v[53:54], v[37:38], off offset:64
	s_mov_b32 s6, 0x3f737871
	s_mov_b32 s7, 0xbf737871
	;; [unrolled: 1-line block ×3, first 2 shown]
	s_waitcnt vmcnt(0) lgkmcnt(0)
	s_barrier
	v_mul_f32_e32 v40, v21, v3
	v_mul_f32_e32 v39, v20, v3
	;; [unrolled: 1-line block ×11, first 2 shown]
	v_fma_f32 v40, v20, v2, -v40
	v_fmac_f32_e32 v39, v21, v2
	v_fmac_f32_e32 v42, v29, v14
	;; [unrolled: 1-line block ×3, first 2 shown]
	v_fma_f32 v29, v24, v6, -v64
	v_fmac_f32_e32 v46, v25, v6
	v_mul_f32_e32 v38, v22, v13
	v_mul_f32_e32 v41, v30, v9
	;; [unrolled: 1-line block ×3, first 2 shown]
	v_fma_f32 v20, v22, v12, -v47
	v_fma_f32 v22, v28, v14, -v48
	;; [unrolled: 1-line block ×4, first 2 shown]
	v_fmac_f32_e32 v43, v35, v4
	v_add_f32_e32 v32, v40, v29
	v_sub_f32_e32 v35, v39, v42
	v_sub_f32_e32 v48, v46, v44
	v_add_f32_e32 v49, v39, v46
	v_mul_f32_e32 v65, v27, v54
	v_fmac_f32_e32 v38, v23, v12
	v_fmac_f32_e32 v41, v31, v8
	v_fma_f32 v23, v34, v4, -v63
	v_sub_f32_e32 v30, v40, v22
	v_sub_f32_e32 v31, v29, v28
	;; [unrolled: 1-line block ×4, first 2 shown]
	v_add_f32_e32 v66, v35, v48
	v_fma_f32 v48, -0.5, v32, v16
	v_fma_f32 v61, -0.5, v49, v17
	v_mul_f32_e32 v37, v19, v1
	v_mul_f32_e32 v45, v26, v54
	v_fma_f32 v24, v26, v53, -v65
	v_sub_f32_e32 v26, v42, v44
	v_sub_f32_e32 v47, v22, v28
	v_add_f32_e32 v67, v30, v31
	v_add_f32_e32 v31, v63, v68
	v_mov_b32_e32 v49, v48
	v_mov_b32_e32 v63, v61
	v_fma_f32 v37, v18, v0, -v37
	v_fmac_f32_e32 v45, v27, v53
	v_sub_f32_e32 v25, v39, v46
	v_sub_f32_e32 v33, v22, v40
	;; [unrolled: 1-line block ×4, first 2 shown]
	v_add_f32_e32 v71, v20, v24
	v_fmac_f32_e32 v48, 0x3f737871, v26
	v_fmac_f32_e32 v61, 0xbf737871, v47
	;; [unrolled: 1-line block ×4, first 2 shown]
	v_sub_f32_e32 v69, v20, v21
	v_sub_f32_e32 v70, v24, v23
	v_add_f32_e32 v30, v33, v34
	v_fma_f32 v32, -0.5, v71, v37
	v_fmac_f32_e32 v48, 0xbf167918, v25
	v_fmac_f32_e32 v61, 0x3f167918, v27
	;; [unrolled: 1-line block ×4, first 2 shown]
	v_sub_f32_e32 v65, v41, v43
	v_add_f32_e32 v68, v69, v70
	v_mov_b32_e32 v34, v32
	v_fmac_f32_e32 v48, 0x3e9e377a, v30
	v_fmac_f32_e32 v61, 0x3e9e377a, v31
	;; [unrolled: 1-line block ×4, first 2 shown]
	v_sub_f32_e32 v30, v38, v41
	v_sub_f32_e32 v31, v45, v43
	v_mul_f32_e32 v69, v18, v1
	v_sub_f32_e32 v64, v38, v45
	v_sub_f32_e32 v72, v21, v20
	v_sub_f32_e32 v73, v23, v24
	v_fmac_f32_e32 v32, 0x3f737871, v65
	v_fmac_f32_e32 v34, 0xbf737871, v65
	v_add_f32_e32 v70, v30, v31
	v_sub_f32_e32 v30, v41, v38
	v_sub_f32_e32 v31, v43, v45
	v_fmac_f32_e32 v69, v19, v0
	v_add_f32_e32 v18, v38, v45
	v_add_f32_e32 v33, v72, v73
	v_fmac_f32_e32 v34, 0x3f167918, v64
	v_fmac_f32_e32 v32, 0xbf167918, v64
	v_add_f32_e32 v30, v30, v31
	v_fma_f32 v31, -0.5, v18, v69
	v_fmac_f32_e32 v34, 0x3e9e377a, v33
	v_fmac_f32_e32 v32, 0x3e9e377a, v33
	v_sub_f32_e32 v73, v21, v23
	v_mov_b32_e32 v33, v31
	v_fmac_f32_e32 v33, 0x3f737871, v73
	v_sub_f32_e32 v75, v20, v24
	v_fmac_f32_e32 v31, 0xbf737871, v73
	v_fmac_f32_e32 v33, 0xbf167918, v75
	;; [unrolled: 1-line block ×5, first 2 shown]
	v_mul_f32_e32 v30, 0x3e9e377a, v32
	v_fma_f32 v71, v31, s6, -v30
	v_mul_f32_e32 v30, 0x3e9e377a, v31
	v_fma_f32 v72, v32, s7, -v30
	v_add_f32_e32 v30, v21, v23
	v_fma_f32 v79, -0.5, v30, v37
	v_add_f32_e32 v31, v41, v43
	v_mov_b32_e32 v30, v79
	v_fma_f32 v81, -0.5, v31, v69
	v_fmac_f32_e32 v30, 0xbf737871, v64
	v_mov_b32_e32 v31, v81
	v_fmac_f32_e32 v30, 0xbf167918, v65
	v_fmac_f32_e32 v31, 0x3f737871, v75
	;; [unrolled: 1-line block ×4, first 2 shown]
	s_mov_b32 s6, 0x3f167918
	v_fmac_f32_e32 v31, 0x3e9e377a, v70
	v_mul_f32_e32 v32, 0x3f4f1bbd, v30
	s_mov_b32 s7, 0xbf167918
	v_fma_f32 v74, v31, s6, -v32
	v_mul_f32_e32 v31, 0x3f4f1bbd, v31
	v_fma_f32 v77, v30, s7, -v31
	v_add_f32_e32 v30, v22, v28
	v_fma_f32 v80, -0.5, v30, v16
	v_add_f32_e32 v30, v42, v44
	v_fma_f32 v82, -0.5, v30, v17
	v_mov_b32_e32 v76, v80
	v_mov_b32_e32 v78, v82
	v_fmac_f32_e32 v76, 0xbf737871, v25
	v_fmac_f32_e32 v78, 0x3f737871, v27
	v_mul_f32_e32 v18, 0x3f737871, v33
	v_mul_f32_e32 v19, 0xbf737871, v34
	v_fmac_f32_e32 v76, 0xbf167918, v26
	v_fmac_f32_e32 v78, 0x3f167918, v47
	;; [unrolled: 1-line block ×6, first 2 shown]
	v_sub_f32_e32 v32, v48, v71
	v_sub_f32_e32 v34, v76, v74
	;; [unrolled: 1-line block ×6, first 2 shown]
	s_and_saveexec_b64 s[6:7], s[2:3]
	s_cbranch_execz .LBB0_11
; %bb.10:
	v_mul_f32_e32 v83, 0x3f167918, v26
	v_mul_f32_e32 v26, 0x3f737871, v27
	;; [unrolled: 1-line block ×3, first 2 shown]
	v_sub_f32_e32 v26, v82, v26
	v_mul_f32_e32 v47, 0x3e9e377a, v66
	v_mul_f32_e32 v66, 0x3e9e377a, v68
	;; [unrolled: 1-line block ×3, first 2 shown]
	v_sub_f32_e32 v26, v26, v27
	v_mul_f32_e32 v73, 0x3f167918, v73
	v_add_f32_e32 v27, v47, v26
	v_sub_f32_e32 v26, v81, v68
	v_add_f32_e32 v17, v17, v39
	v_add_f32_e32 v16, v16, v40
	v_mul_f32_e32 v64, 0x3f737871, v64
	v_mul_f32_e32 v70, 0x3e9e377a, v70
	v_sub_f32_e32 v26, v26, v73
	v_add_f32_e32 v17, v17, v42
	v_add_f32_e32 v16, v16, v22
	v_mul_f32_e32 v65, 0x3f167918, v65
	v_add_f32_e32 v47, v70, v26
	v_add_f32_e32 v26, v79, v64
	;; [unrolled: 1-line block ×4, first 2 shown]
	v_mul_f32_e32 v25, 0x3f737871, v25
	v_add_f32_e32 v26, v65, v26
	v_add_f32_e32 v39, v17, v46
	;; [unrolled: 1-line block ×9, first 2 shown]
	v_mul_f32_e32 v67, 0x3e9e377a, v67
	v_mul_f32_e32 v26, 0x3f167918, v64
	v_add_f32_e32 v17, v17, v43
	v_add_f32_e32 v25, v83, v25
	v_mul_f32_e32 v42, 0x3f167918, v47
	v_add_f32_e32 v16, v16, v23
	v_add_f32_e32 v23, v49, v18
	v_mul_u32_u24_e32 v18, 0x6e, v59
	v_fma_f32 v65, v47, s14, -v26
	v_add_f32_e32 v38, v17, v45
	v_add_f32_e32 v41, v67, v25
	v_fmac_f32_e32 v42, 0x3f4f1bbd, v64
	v_add_f32_e32 v37, v16, v24
	v_add_u32_e32 v18, v18, v60
	v_sub_f32_e32 v26, v27, v65
	v_sub_f32_e32 v17, v39, v38
	;; [unrolled: 1-line block ×3, first 2 shown]
	v_add_f32_e32 v28, v27, v65
	v_add_f32_e32 v38, v39, v38
	;; [unrolled: 1-line block ×4, first 2 shown]
	v_add_lshl_u32 v18, v36, v18, 3
	v_sub_f32_e32 v25, v41, v42
	v_add_f32_e32 v20, v78, v77
	v_add_f32_e32 v22, v61, v72
	;; [unrolled: 1-line block ×5, first 2 shown]
	ds_write2_b64 v18, v[37:38], v[27:28] offset1:11
	ds_write2_b64 v18, v[23:24], v[21:22] offset0:22 offset1:33
	ds_write2_b64 v18, v[19:20], v[16:17] offset0:44 offset1:55
	;; [unrolled: 1-line block ×4, first 2 shown]
.LBB0_11:
	s_or_b64 exec, exec, s[6:7]
	v_mad_u64_u32 v[28:29], s[12:13], v55, 48, s[12:13]
	s_load_dwordx4 s[4:7], s[4:5], 0x0
	s_waitcnt lgkmcnt(0)
	s_barrier
	global_load_dwordx4 v[24:27], v[28:29], off offset:792
	global_load_dwordx4 v[20:23], v[28:29], off offset:808
	;; [unrolled: 1-line block ×3, first 2 shown]
	v_add_u32_e32 v40, 0x400, v58
	v_add_u32_e32 v44, 0xc00, v58
	ds_read2_b64 v[36:39], v58 offset1:110
	ds_read_b64 v[28:29], v58 offset:5280
	ds_read2_b64 v[40:43], v40 offset0:92 offset1:202
	ds_read2_b64 v[44:47], v44 offset0:56 offset1:166
	s_mov_b32 s13, 0x3f3bfb3b
	s_mov_b32 s14, 0xbf3bfb3b
	s_mov_b32 s12, 0x3f5ff5aa
	s_waitcnt vmcnt(2) lgkmcnt(3)
	v_mul_f32_e32 v48, v39, v25
	v_mul_f32_e32 v49, v38, v25
	s_waitcnt lgkmcnt(1)
	v_mul_f32_e32 v61, v41, v27
	s_waitcnt vmcnt(1)
	v_mul_f32_e32 v64, v43, v21
	s_waitcnt vmcnt(0) lgkmcnt(0)
	v_mul_f32_e32 v68, v47, v17
	v_mul_f32_e32 v70, v29, v19
	;; [unrolled: 1-line block ×7, first 2 shown]
	v_fma_f32 v38, v38, v24, -v48
	v_fmac_f32_e32 v49, v39, v24
	v_fma_f32 v39, v40, v26, -v61
	v_fma_f32 v40, v42, v20, -v64
	;; [unrolled: 1-line block ×4, first 2 shown]
	v_mul_f32_e32 v67, v44, v23
	v_fmac_f32_e32 v63, v41, v26
	v_fma_f32 v41, v44, v22, -v66
	v_fmac_f32_e32 v69, v47, v16
	v_fmac_f32_e32 v71, v29, v18
	v_add_f32_e32 v29, v38, v28
	v_add_f32_e32 v44, v39, v42
	v_fmac_f32_e32 v65, v43, v20
	v_fmac_f32_e32 v67, v45, v22
	v_add_f32_e32 v43, v49, v71
	v_add_f32_e32 v45, v63, v69
	;; [unrolled: 1-line block ×4, first 2 shown]
	v_sub_f32_e32 v28, v38, v28
	v_sub_f32_e32 v38, v49, v71
	;; [unrolled: 1-line block ×4, first 2 shown]
	v_add_f32_e32 v47, v65, v67
	v_sub_f32_e32 v40, v41, v40
	v_sub_f32_e32 v41, v67, v65
	v_add_f32_e32 v49, v45, v43
	v_sub_f32_e32 v61, v44, v29
	v_sub_f32_e32 v29, v29, v46
	;; [unrolled: 1-line block ×3, first 2 shown]
	v_add_f32_e32 v46, v46, v48
	v_sub_f32_e32 v63, v45, v43
	v_sub_f32_e32 v43, v43, v47
	;; [unrolled: 1-line block ×3, first 2 shown]
	v_add_f32_e32 v64, v40, v39
	v_add_f32_e32 v65, v41, v42
	v_sub_f32_e32 v66, v40, v39
	v_sub_f32_e32 v67, v41, v42
	v_add_f32_e32 v47, v47, v49
	v_mul_f32_e32 v29, 0x3f4a47b2, v29
	v_mul_f32_e32 v48, 0x3d64c772, v44
	v_add_f32_e32 v36, v36, v46
	v_sub_f32_e32 v40, v28, v40
	v_sub_f32_e32 v41, v38, v41
	;; [unrolled: 1-line block ×4, first 2 shown]
	v_add_f32_e32 v28, v64, v28
	v_add_f32_e32 v38, v65, v38
	v_mul_f32_e32 v43, 0x3f4a47b2, v43
	v_mul_f32_e32 v64, 0xbf08b237, v66
	;; [unrolled: 1-line block ×3, first 2 shown]
	v_add_f32_e32 v37, v37, v47
	v_fma_f32 v48, v61, s13, -v48
	v_fma_f32 v61, v61, s14, -v29
	v_fmac_f32_e32 v29, 0x3d64c772, v44
	v_mov_b32_e32 v44, v36
	v_mul_f32_e32 v49, 0x3d64c772, v45
	v_mul_f32_e32 v66, 0x3f5ff5aa, v39
	;; [unrolled: 1-line block ×3, first 2 shown]
	v_mov_b32_e32 v68, v37
	v_fmac_f32_e32 v44, 0xbf955555, v46
	v_fma_f32 v46, v63, s14, -v43
	v_fmac_f32_e32 v43, 0x3d64c772, v45
	v_fma_f32 v45, v39, s12, -v64
	v_fma_f32 v42, v42, s12, -v65
	s_mov_b32 s12, 0xbeae86e6
	v_fma_f32 v49, v63, s13, -v49
	v_fmac_f32_e32 v68, 0xbf955555, v47
	v_fmac_f32_e32 v64, 0x3eae86e6, v40
	v_fma_f32 v40, v40, s12, -v66
	v_fmac_f32_e32 v65, 0x3eae86e6, v41
	v_fma_f32 v41, v41, s12, -v67
	v_add_f32_e32 v29, v29, v44
	v_add_f32_e32 v63, v43, v68
	;; [unrolled: 1-line block ×6, first 2 shown]
	v_fmac_f32_e32 v45, 0x3ee1c552, v28
	v_fmac_f32_e32 v42, 0x3ee1c552, v38
	;; [unrolled: 1-line block ×4, first 2 shown]
	v_sub_f32_e32 v47, v61, v40
	v_sub_f32_e32 v48, v43, v42
	v_add_f32_e32 v49, v45, v66
	v_add_f32_e32 v42, v42, v43
	v_sub_f32_e32 v43, v66, v45
	v_add_f32_e32 v45, v40, v61
	v_lshl_add_u32 v61, v55, 3, v57
	v_fmac_f32_e32 v64, 0x3ee1c552, v28
	v_fmac_f32_e32 v65, 0x3ee1c552, v38
	v_add_f32_e32 v46, v41, v44
	v_add_u32_e32 v40, 0x400, v61
	v_add_f32_e32 v38, v65, v29
	v_sub_f32_e32 v39, v63, v64
	v_sub_f32_e32 v44, v44, v41
	;; [unrolled: 1-line block ×3, first 2 shown]
	v_add_f32_e32 v29, v64, v63
	ds_write2_b64 v40, v[46:47], v[48:49] offset0:92 offset1:202
	v_add_u32_e32 v40, 0xc00, v61
	ds_write2_b64 v61, v[36:37], v[38:39] offset1:110
	ds_write2_b64 v40, v[42:43], v[44:45] offset0:56 offset1:166
	ds_write_b64 v61, v[28:29] offset:5280
	s_waitcnt lgkmcnt(0)
	s_barrier
	s_and_saveexec_b64 s[12:13], s[0:1]
	s_cbranch_execz .LBB0_13
; %bb.12:
	v_add_co_u32_e32 v71, vcc, s10, v56
	v_mov_b32_e32 v40, s11
	v_addc_co_u32_e32 v72, vcc, 0, v40, vcc
	v_add_co_u32_e32 v40, vcc, 0x1810, v71
	v_addc_co_u32_e32 v41, vcc, 0, v72, vcc
	v_add_co_u32_e32 v67, vcc, 0x1000, v71
	v_addc_co_u32_e32 v68, vcc, 0, v72, vcc
	global_load_dwordx2 v[67:68], v[67:68], off offset:2064
	ds_read2_b64 v[63:66], v61 offset1:70
	v_add_u32_e32 v73, 0x800, v61
	s_movk_i32 s14, 0x2000
	s_waitcnt vmcnt(0) lgkmcnt(0)
	v_mul_f32_e32 v69, v64, v68
	v_mul_f32_e32 v70, v63, v68
	v_fma_f32 v69, v63, v67, -v69
	v_fmac_f32_e32 v70, v64, v67
	global_load_dwordx2 v[63:64], v[40:41], off offset:560
	s_waitcnt vmcnt(0)
	v_mul_f32_e32 v67, v66, v64
	v_mul_f32_e32 v68, v65, v64
	v_fma_f32 v67, v65, v63, -v67
	v_fmac_f32_e32 v68, v66, v63
	ds_write2_b64 v61, v[69:70], v[67:68] offset1:70
	global_load_dwordx2 v[67:68], v[40:41], off offset:1120
	ds_read2_b64 v[63:66], v61 offset0:140 offset1:210
	s_waitcnt vmcnt(0) lgkmcnt(0)
	v_mul_f32_e32 v69, v64, v68
	v_mul_f32_e32 v70, v63, v68
	v_fma_f32 v69, v63, v67, -v69
	v_fmac_f32_e32 v70, v64, v67
	global_load_dwordx2 v[63:64], v[40:41], off offset:1680
	s_waitcnt vmcnt(0)
	v_mul_f32_e32 v67, v66, v64
	v_mul_f32_e32 v68, v65, v64
	v_fma_f32 v67, v65, v63, -v67
	v_fmac_f32_e32 v68, v66, v63
	ds_write2_b64 v61, v[69:70], v[67:68] offset0:140 offset1:210
	global_load_dwordx2 v[67:68], v[40:41], off offset:2240
	ds_read2_b64 v[63:66], v73 offset0:24 offset1:94
	s_waitcnt vmcnt(0) lgkmcnt(0)
	v_mul_f32_e32 v69, v64, v68
	v_mul_f32_e32 v70, v63, v68
	v_fma_f32 v69, v63, v67, -v69
	v_fmac_f32_e32 v70, v64, v67
	global_load_dwordx2 v[63:64], v[40:41], off offset:2800
	s_waitcnt vmcnt(0)
	v_mul_f32_e32 v67, v66, v64
	v_mul_f32_e32 v68, v65, v64
	v_fma_f32 v67, v65, v63, -v67
	v_fmac_f32_e32 v68, v66, v63
	ds_write2_b64 v73, v[69:70], v[67:68] offset0:24 offset1:94
	global_load_dwordx2 v[67:68], v[40:41], off offset:3360
	ds_read2_b64 v[63:66], v73 offset0:164 offset1:234
	global_load_dwordx2 v[40:41], v[40:41], off offset:3920
	s_waitcnt vmcnt(1) lgkmcnt(0)
	v_mul_f32_e32 v69, v64, v68
	v_mul_f32_e32 v70, v63, v68
	v_fma_f32 v69, v63, v67, -v69
	v_fmac_f32_e32 v70, v64, v67
	s_waitcnt vmcnt(0)
	v_mul_f32_e32 v63, v66, v41
	v_mul_f32_e32 v64, v65, v41
	v_fma_f32 v63, v65, v40, -v63
	v_fmac_f32_e32 v64, v66, v40
	v_add_co_u32_e32 v40, vcc, s14, v71
	v_addc_co_u32_e32 v41, vcc, 0, v72, vcc
	global_load_dwordx2 v[67:68], v[40:41], off offset:2448
	ds_write2_b64 v73, v[69:70], v[63:64] offset0:164 offset1:234
	v_add_u32_e32 v73, 0x1000, v61
	ds_read2_b64 v[63:66], v73 offset0:48 offset1:118
	s_waitcnt vmcnt(0) lgkmcnt(0)
	v_mul_f32_e32 v69, v64, v68
	v_mul_f32_e32 v70, v63, v68
	v_fma_f32 v69, v63, v67, -v69
	v_fmac_f32_e32 v70, v64, v67
	global_load_dwordx2 v[63:64], v[40:41], off offset:3008
	s_waitcnt vmcnt(0)
	v_mul_f32_e32 v67, v66, v64
	global_load_dwordx2 v[40:41], v[40:41], off offset:3568
	v_mul_f32_e32 v68, v65, v64
	v_fma_f32 v67, v65, v63, -v67
	v_fmac_f32_e32 v68, v66, v63
	ds_read_b64 v[63:64], v61 offset:5600
	ds_write2_b64 v73, v[69:70], v[67:68] offset0:48 offset1:118
	s_waitcnt vmcnt(0) lgkmcnt(1)
	v_mul_f32_e32 v65, v64, v41
	v_mul_f32_e32 v66, v63, v41
	v_fma_f32 v65, v63, v40, -v65
	v_fmac_f32_e32 v66, v64, v40
	ds_write_b64 v61, v[65:66] offset:5600
.LBB0_13:
	s_or_b64 exec, exec, s[12:13]
	s_waitcnt lgkmcnt(0)
	s_barrier
	s_and_saveexec_b64 s[12:13], s[0:1]
	s_cbranch_execz .LBB0_15
; %bb.14:
	v_add_u32_e32 v28, 0x800, v61
	v_add_u32_e32 v32, 0x1000, v61
	ds_read2_b64 v[36:39], v61 offset1:70
	ds_read2_b64 v[46:49], v61 offset0:140 offset1:210
	ds_read2_b64 v[42:45], v28 offset0:24 offset1:94
	;; [unrolled: 1-line block ×4, first 2 shown]
	ds_read_b64 v[50:51], v61 offset:5600
.LBB0_15:
	s_or_b64 exec, exec, s[12:13]
	s_waitcnt lgkmcnt(5)
	v_add_f32_e32 v41, v39, v37
	v_add_f32_e32 v40, v38, v36
	s_waitcnt lgkmcnt(4)
	v_add_f32_e32 v41, v47, v41
	v_add_f32_e32 v40, v46, v40
	v_add_f32_e32 v41, v49, v41
	v_add_f32_e32 v40, v48, v40
	s_waitcnt lgkmcnt(3)
	v_add_f32_e32 v41, v43, v41
	v_add_f32_e32 v40, v42, v40
	;; [unrolled: 5-line block ×5, first 2 shown]
	v_sub_f32_e32 v51, v39, v51
	v_add_f32_e32 v40, v50, v40
	v_add_f32_e32 v63, v50, v38
	v_sub_f32_e32 v50, v38, v50
	v_mul_f32_e32 v38, 0xbf0a6770, v51
	v_mov_b32_e32 v39, v38
	v_fmac_f32_e32 v39, 0x3f575c64, v63
	s_mov_b32 s14, 0x3f575c64
	v_add_f32_e32 v66, v36, v39
	v_mul_f32_e32 v39, 0xbf0a6770, v50
	v_fma_f32 v65, v64, s14, -v39
	v_add_f32_e32 v69, v37, v65
	v_mul_f32_e32 v65, 0xbf68dda4, v51
	v_mov_b32_e32 v67, v65
	s_mov_b32 s12, 0x3ed4b147
	v_fmac_f32_e32 v67, 0x3ed4b147, v63
	v_add_f32_e32 v70, v36, v67
	v_mul_f32_e32 v67, 0x3ed4b147, v64
	v_fma_f32 v65, v63, s12, -v65
	v_mov_b32_e32 v68, v67
	v_add_f32_e32 v72, v36, v65
	v_fmac_f32_e32 v67, 0xbf68dda4, v50
	v_mul_f32_e32 v65, 0xbf7d64f0, v51
	v_add_f32_e32 v73, v37, v67
	v_mov_b32_e32 v67, v65
	s_mov_b32 s13, 0xbe11bafb
	v_fmac_f32_e32 v67, 0xbe11bafb, v63
	v_fmac_f32_e32 v68, 0x3f68dda4, v50
	v_add_f32_e32 v74, v36, v67
	v_mul_f32_e32 v67, 0xbe11bafb, v64
	v_fma_f32 v65, v63, s13, -v65
	v_add_f32_e32 v71, v37, v68
	v_mov_b32_e32 v68, v67
	v_add_f32_e32 v76, v36, v65
	v_fmac_f32_e32 v67, 0xbf7d64f0, v50
	v_mul_f32_e32 v65, 0xbf4178ce, v51
	v_add_f32_e32 v77, v37, v67
	s_mov_b32 s15, 0xbf27a4f4
	v_mov_b32_e32 v67, v65
	v_fmac_f32_e32 v67, 0xbf27a4f4, v63
	v_fma_f32 v65, v63, s15, -v65
	v_mul_f32_e32 v51, 0xbe903f40, v51
	v_fmac_f32_e32 v68, 0x3f7d64f0, v50
	v_add_f32_e32 v78, v36, v67
	v_mul_f32_e32 v67, 0xbf27a4f4, v64
	v_add_f32_e32 v80, v36, v65
	v_mov_b32_e32 v65, v51
	v_add_f32_e32 v75, v37, v68
	v_mov_b32_e32 v68, v67
	v_fmac_f32_e32 v65, 0xbf75a155, v63
	v_fmac_f32_e32 v68, 0x3f4178ce, v50
	;; [unrolled: 1-line block ×3, first 2 shown]
	v_add_f32_e32 v82, v36, v65
	v_mul_f32_e32 v65, 0xbf75a155, v64
	v_add_f32_e32 v79, v37, v68
	v_add_f32_e32 v81, v37, v67
	v_mov_b32_e32 v67, v65
	v_fmac_f32_e32 v65, 0xbe903f40, v50
	v_add_f32_e32 v68, v35, v47
	v_sub_f32_e32 v35, v47, v35
	v_fmac_f32_e32 v67, 0x3e903f40, v50
	v_add_f32_e32 v50, v37, v65
	v_mul_f32_e32 v65, 0xbf68dda4, v35
	v_add_f32_e32 v83, v37, v67
	v_add_f32_e32 v67, v34, v46
	v_sub_f32_e32 v34, v46, v34
	v_mov_b32_e32 v46, v65
	v_fmac_f32_e32 v46, 0x3ed4b147, v67
	v_add_f32_e32 v46, v46, v66
	v_mul_f32_e32 v66, 0xbf68dda4, v34
	v_fma_f32 v47, v68, s12, -v66
	v_add_f32_e32 v47, v47, v69
	v_mul_f32_e32 v69, 0xbf4178ce, v35
	v_mov_b32_e32 v84, v69
	v_fmac_f32_e32 v84, 0xbf27a4f4, v67
	v_add_f32_e32 v84, v84, v70
	v_mul_f32_e32 v70, 0xbf27a4f4, v68
	v_fma_f32 v69, v67, s15, -v69
	v_mov_b32_e32 v85, v70
	v_add_f32_e32 v86, v69, v72
	v_fmac_f32_e32 v70, 0xbf4178ce, v34
	v_mul_f32_e32 v69, 0x3e903f40, v35
	v_add_f32_e32 v73, v70, v73
	v_mov_b32_e32 v70, v69
	s_mov_b32 s16, 0xbf75a155
	v_fmac_f32_e32 v70, 0xbf75a155, v67
	v_fmac_f32_e32 v85, 0x3f4178ce, v34
	v_add_f32_e32 v74, v70, v74
	v_mul_f32_e32 v70, 0xbf75a155, v68
	v_fma_f32 v69, v67, s16, -v69
	v_add_f32_e32 v85, v85, v71
	v_mov_b32_e32 v71, v70
	v_add_f32_e32 v76, v69, v76
	v_fmac_f32_e32 v70, 0x3e903f40, v34
	v_mul_f32_e32 v69, 0x3f7d64f0, v35
	v_add_f32_e32 v77, v70, v77
	v_mov_b32_e32 v70, v69
	v_fma_f32 v69, v67, s13, -v69
	v_mul_f32_e32 v35, 0x3f0a6770, v35
	v_fmac_f32_e32 v70, 0xbe11bafb, v67
	v_add_f32_e32 v80, v69, v80
	v_mov_b32_e32 v69, v35
	v_fmac_f32_e32 v71, 0xbe903f40, v34
	v_add_f32_e32 v78, v70, v78
	v_mul_f32_e32 v70, 0xbe11bafb, v68
	v_fmac_f32_e32 v69, 0x3f575c64, v67
	v_add_f32_e32 v75, v71, v75
	v_mov_b32_e32 v71, v70
	v_fmac_f32_e32 v70, 0x3f7d64f0, v34
	v_add_f32_e32 v82, v69, v82
	v_mul_f32_e32 v69, 0x3f575c64, v68
	v_add_f32_e32 v81, v70, v81
	v_mov_b32_e32 v70, v69
	v_fmac_f32_e32 v69, 0x3f0a6770, v34
	v_add_f32_e32 v72, v33, v49
	v_sub_f32_e32 v33, v49, v33
	v_fmac_f32_e32 v71, 0xbf7d64f0, v34
	v_fmac_f32_e32 v70, 0xbf0a6770, v34
	v_add_f32_e32 v34, v69, v50
	v_mul_f32_e32 v69, 0xbf7d64f0, v33
	v_add_f32_e32 v79, v71, v79
	v_add_f32_e32 v71, v32, v48
	v_sub_f32_e32 v32, v48, v32
	v_mov_b32_e32 v48, v69
	v_add_f32_e32 v83, v70, v83
	v_fmac_f32_e32 v48, 0xbe11bafb, v71
	v_mul_f32_e32 v70, 0xbf7d64f0, v32
	v_fma_f32 v51, v63, s16, -v51
	v_add_f32_e32 v46, v48, v46
	v_fma_f32 v48, v72, s13, -v70
	v_add_f32_e32 v51, v36, v51
	;; [unrolled: 2-line block ×3, first 2 shown]
	v_mul_f32_e32 v48, 0x3e903f40, v33
	v_mul_f32_e32 v50, 0xbf75a155, v72
	v_add_f32_e32 v35, v35, v51
	v_mov_b32_e32 v49, v48
	v_mov_b32_e32 v51, v50
	v_fmac_f32_e32 v50, 0x3e903f40, v32
	v_fmac_f32_e32 v49, 0xbf75a155, v71
	v_add_f32_e32 v50, v50, v73
	v_mul_f32_e32 v73, 0x3f68dda4, v33
	v_add_f32_e32 v49, v49, v84
	v_mov_b32_e32 v84, v73
	v_fmac_f32_e32 v84, 0x3ed4b147, v71
	v_fmac_f32_e32 v51, 0xbe903f40, v32
	v_fma_f32 v48, v71, s16, -v48
	v_add_f32_e32 v84, v84, v74
	v_mul_f32_e32 v74, 0x3ed4b147, v72
	v_fma_f32 v73, v71, s12, -v73
	v_add_f32_e32 v51, v51, v85
	v_add_f32_e32 v48, v48, v86
	v_mov_b32_e32 v85, v74
	v_add_f32_e32 v86, v73, v76
	v_fmac_f32_e32 v74, 0x3f68dda4, v32
	v_mul_f32_e32 v73, 0xbf0a6770, v33
	v_add_f32_e32 v77, v74, v77
	v_mov_b32_e32 v74, v73
	v_fma_f32 v73, v71, s14, -v73
	v_mul_f32_e32 v33, 0xbf4178ce, v33
	v_fmac_f32_e32 v74, 0x3f575c64, v71
	v_add_f32_e32 v80, v73, v80
	v_mov_b32_e32 v73, v33
	v_fmac_f32_e32 v85, 0xbf68dda4, v32
	v_add_f32_e32 v78, v74, v78
	v_mul_f32_e32 v74, 0x3f575c64, v72
	v_fmac_f32_e32 v73, 0xbf27a4f4, v71
	v_add_f32_e32 v85, v85, v75
	v_mov_b32_e32 v75, v74
	v_fmac_f32_e32 v74, 0xbf0a6770, v32
	v_add_f32_e32 v82, v73, v82
	v_mul_f32_e32 v73, 0xbf27a4f4, v72
	v_fmac_f32_e32 v75, 0x3f0a6770, v32
	v_add_f32_e32 v81, v74, v81
	v_mov_b32_e32 v74, v73
	v_fmac_f32_e32 v73, 0xbf4178ce, v32
	v_add_f32_e32 v76, v31, v43
	v_sub_f32_e32 v31, v43, v31
	v_add_f32_e32 v79, v75, v79
	v_fmac_f32_e32 v74, 0x3f4178ce, v32
	v_add_f32_e32 v32, v73, v34
	v_add_f32_e32 v75, v30, v42
	v_sub_f32_e32 v30, v42, v30
	v_mul_f32_e32 v73, 0xbf4178ce, v31
	v_mul_f32_e32 v42, 0x3f7d64f0, v31
	v_mov_b32_e32 v34, v73
	v_mov_b32_e32 v43, v42
	v_add_f32_e32 v83, v74, v83
	v_fma_f32 v33, v71, s15, -v33
	v_fmac_f32_e32 v34, 0xbf27a4f4, v75
	v_mul_f32_e32 v74, 0xbf4178ce, v30
	v_fmac_f32_e32 v43, 0xbe11bafb, v75
	v_add_f32_e32 v33, v33, v35
	v_add_f32_e32 v34, v34, v46
	v_fma_f32 v35, v76, s15, -v74
	v_add_f32_e32 v46, v43, v49
	v_mul_f32_e32 v43, 0xbe11bafb, v76
	v_fma_f32 v42, v75, s13, -v42
	v_add_f32_e32 v35, v35, v47
	v_mov_b32_e32 v47, v43
	v_add_f32_e32 v48, v42, v48
	v_fmac_f32_e32 v43, 0x3f7d64f0, v30
	v_mul_f32_e32 v42, 0xbf0a6770, v31
	v_add_f32_e32 v49, v43, v50
	v_mov_b32_e32 v43, v42
	v_fmac_f32_e32 v43, 0x3f575c64, v75
	v_fmac_f32_e32 v47, 0xbf7d64f0, v30
	v_add_f32_e32 v50, v43, v84
	v_mul_f32_e32 v43, 0x3f575c64, v76
	v_add_f32_e32 v47, v47, v51
	v_mov_b32_e32 v51, v43
	v_fma_f32 v42, v75, s14, -v42
	v_fmac_f32_e32 v51, 0x3f0a6770, v30
	v_add_f32_e32 v84, v42, v86
	v_fmac_f32_e32 v43, 0xbf0a6770, v30
	v_mul_f32_e32 v42, 0xbe903f40, v31
	v_add_f32_e32 v51, v51, v85
	v_add_f32_e32 v85, v43, v77
	v_mov_b32_e32 v43, v42
	v_fmac_f32_e32 v43, 0xbf75a155, v75
	v_add_f32_e32 v86, v43, v78
	v_mul_f32_e32 v43, 0xbf75a155, v76
	v_mov_b32_e32 v77, v43
	v_fma_f32 v42, v75, s16, -v42
	v_mul_f32_e32 v31, 0x3f68dda4, v31
	v_fmac_f32_e32 v77, 0x3e903f40, v30
	v_add_f32_e32 v88, v42, v80
	v_mov_b32_e32 v42, v31
	v_sub_f32_e32 v92, v45, v29
	v_add_f32_e32 v87, v77, v79
	v_fmac_f32_e32 v42, 0x3ed4b147, v75
	v_mul_f32_e32 v77, 0xbe903f40, v92
	v_fmac_f32_e32 v43, 0xbe903f40, v30
	v_add_f32_e32 v82, v42, v82
	v_mul_f32_e32 v42, 0x3ed4b147, v76
	v_add_f32_e32 v79, v28, v44
	v_sub_f32_e32 v91, v44, v28
	v_mov_b32_e32 v28, v77
	v_add_f32_e32 v81, v43, v81
	v_mov_b32_e32 v43, v42
	v_fma_f32 v31, v75, s12, -v31
	v_fmac_f32_e32 v42, 0x3f68dda4, v30
	v_add_f32_e32 v80, v29, v45
	v_fmac_f32_e32 v28, 0xbf75a155, v79
	v_mul_f32_e32 v78, 0xbe903f40, v91
	v_fmac_f32_e32 v43, 0xbf68dda4, v30
	v_add_f32_e32 v89, v31, v33
	v_add_f32_e32 v90, v42, v32
	;; [unrolled: 1-line block ×3, first 2 shown]
	v_fma_f32 v28, v80, s16, -v78
	v_mul_f32_e32 v30, 0x3f0a6770, v92
	v_mul_f32_e32 v31, 0x3f575c64, v80
	v_add_f32_e32 v83, v43, v83
	v_add_f32_e32 v43, v28, v35
	v_mov_b32_e32 v28, v30
	v_mov_b32_e32 v29, v31
	v_fmac_f32_e32 v28, 0x3f575c64, v79
	v_fmac_f32_e32 v29, 0xbf0a6770, v91
	v_fma_f32 v30, v79, s14, -v30
	v_fmac_f32_e32 v31, 0x3f0a6770, v91
	v_mul_f32_e32 v32, 0xbf4178ce, v92
	v_mul_f32_e32 v33, 0xbf27a4f4, v80
	v_add_f32_e32 v28, v28, v46
	v_add_f32_e32 v29, v29, v47
	;; [unrolled: 1-line block ×4, first 2 shown]
	v_mov_b32_e32 v30, v32
	v_mov_b32_e32 v31, v33
	v_fma_f32 v32, v79, s15, -v32
	v_fmac_f32_e32 v33, 0xbf4178ce, v91
	v_mul_f32_e32 v34, 0x3f68dda4, v92
	v_mul_f32_e32 v35, 0x3ed4b147, v80
	v_fmac_f32_e32 v30, 0xbf27a4f4, v79
	v_fmac_f32_e32 v31, 0x3f4178ce, v91
	v_add_f32_e32 v44, v32, v84
	v_add_f32_e32 v45, v33, v85
	v_mov_b32_e32 v32, v34
	v_mov_b32_e32 v33, v35
	v_fma_f32 v34, v79, s12, -v34
	v_fmac_f32_e32 v35, 0x3f68dda4, v91
	v_mul_f32_e32 v48, 0xbf7d64f0, v92
	v_mul_f32_e32 v49, 0xbe11bafb, v80
	v_add_f32_e32 v30, v30, v50
	v_add_f32_e32 v31, v31, v51
	;; [unrolled: 1-line block ×4, first 2 shown]
	v_mov_b32_e32 v34, v48
	v_mov_b32_e32 v35, v49
	v_fmac_f32_e32 v32, 0x3ed4b147, v79
	v_fmac_f32_e32 v33, 0xbf68dda4, v91
	;; [unrolled: 1-line block ×4, first 2 shown]
	v_fma_f32 v48, v79, s13, -v48
	v_fmac_f32_e32 v49, 0xbf7d64f0, v91
	v_add_f32_e32 v32, v32, v86
	v_add_f32_e32 v33, v33, v87
	;; [unrolled: 1-line block ×6, first 2 shown]
	s_barrier
	s_and_saveexec_b64 s[12:13], s[0:1]
	s_cbranch_execz .LBB0_17
; %bb.16:
	v_mul_f32_e32 v63, 0x3f575c64, v63
	v_mul_f32_e32 v64, 0x3f575c64, v64
	;; [unrolled: 1-line block ×3, first 2 shown]
	v_sub_f32_e32 v38, v63, v38
	v_mul_f32_e32 v68, 0x3ed4b147, v68
	v_mul_f32_e32 v71, 0xbe11bafb, v71
	v_add_f32_e32 v39, v39, v64
	v_add_f32_e32 v36, v36, v38
	v_sub_f32_e32 v38, v67, v65
	v_mul_f32_e32 v72, 0xbe11bafb, v72
	v_mul_f32_e32 v75, 0xbf27a4f4, v75
	v_add_f32_e32 v37, v37, v39
	v_add_f32_e32 v39, v66, v68
	;; [unrolled: 1-line block ×3, first 2 shown]
	v_sub_f32_e32 v38, v71, v69
	v_mul_f32_e32 v76, 0xbf27a4f4, v76
	v_mul_f32_e32 v79, 0xbf75a155, v79
	v_add_f32_e32 v37, v39, v37
	v_add_f32_e32 v39, v70, v72
	;; [unrolled: 1-line block ×3, first 2 shown]
	v_sub_f32_e32 v38, v75, v73
	v_mul_f32_e32 v80, 0xbf75a155, v80
	v_add_f32_e32 v37, v39, v37
	v_add_f32_e32 v39, v74, v76
	;; [unrolled: 1-line block ×3, first 2 shown]
	v_sub_f32_e32 v38, v79, v77
	v_add_f32_e32 v37, v39, v37
	v_add_f32_e32 v39, v78, v80
	;; [unrolled: 1-line block ×3, first 2 shown]
	v_lshl_add_u32 v38, v62, 3, v57
	v_add_f32_e32 v37, v39, v37
	ds_write2_b64 v38, v[40:41], v[42:43] offset1:1
	ds_write2_b64 v38, v[28:29], v[30:31] offset0:2 offset1:3
	ds_write2_b64 v38, v[32:33], v[34:35] offset0:4 offset1:5
	;; [unrolled: 1-line block ×4, first 2 shown]
	ds_write_b64 v38, v[36:37] offset:80
.LBB0_17:
	s_or_b64 exec, exec, s[12:13]
	s_waitcnt lgkmcnt(0)
	s_barrier
	s_and_saveexec_b64 s[12:13], s[2:3]
	s_cbranch_execz .LBB0_19
; %bb.18:
	v_add_u32_e32 v36, 0xc00, v58
	ds_read2_b64 v[40:43], v58 offset1:77
	ds_read2_b64 v[28:31], v58 offset0:154 offset1:231
	v_add_u32_e32 v32, 0x800, v58
	ds_read2_b64 v[48:51], v36 offset0:78 offset1:155
	v_add_u32_e32 v36, 0x1000, v58
	ds_read2_b64 v[32:35], v32 offset0:52 offset1:129
	ds_read2_b64 v[44:47], v36 offset0:104 offset1:181
.LBB0_19:
	s_or_b64 exec, exec, s[12:13]
	s_waitcnt lgkmcnt(0)
	s_barrier
	s_and_saveexec_b64 s[12:13], s[2:3]
	s_cbranch_execz .LBB0_21
; %bb.20:
	v_mul_f32_e32 v37, v15, v32
	v_mul_f32_e32 v62, v11, v48
	;; [unrolled: 1-line block ×5, first 2 shown]
	v_fma_f32 v37, v14, v33, -v37
	v_fma_f32 v62, v10, v49, -v62
	v_fmac_f32_e32 v15, v14, v32
	v_fmac_f32_e32 v11, v10, v48
	v_mul_f32_e32 v10, v13, v31
	v_mul_f32_e32 v14, v9, v35
	;; [unrolled: 1-line block ×4, first 2 shown]
	v_fma_f32 v36, v2, v29, -v36
	v_mul_f32_e32 v39, v7, v44
	v_mul_f32_e32 v29, v3, v29
	v_fmac_f32_e32 v10, v12, v30
	v_fmac_f32_e32 v14, v8, v34
	;; [unrolled: 1-line block ×4, first 2 shown]
	v_fma_f32 v39, v6, v45, -v39
	v_fmac_f32_e32 v29, v2, v28
	v_mul_f32_e32 v28, v7, v45
	v_sub_f32_e32 v3, v10, v14
	v_sub_f32_e32 v7, v32, v33
	v_mul_f32_e32 v45, v1, v43
	v_add_f32_e32 v7, v7, v3
	v_fmac_f32_e32 v45, v0, v42
	v_add_f32_e32 v3, v33, v14
	v_fma_f32 v48, -0.5, v3, v45
	v_mul_f32_e32 v3, v13, v30
	v_fma_f32 v12, v12, v31, -v3
	v_mul_f32_e32 v3, v54, v46
	v_fma_f32 v13, v53, v47, -v3
	;; [unrolled: 2-line block ×4, first 2 shown]
	v_sub_f32_e32 v3, v12, v8
	v_sub_f32_e32 v5, v13, v4
	v_add_f32_e32 v34, v5, v3
	v_sub_f32_e32 v3, v37, v36
	v_sub_f32_e32 v5, v62, v39
	v_add_f32_e32 v5, v5, v3
	v_add_f32_e32 v3, v39, v36
	v_sub_f32_e32 v38, v36, v37
	v_sub_f32_e32 v63, v39, v62
	v_fma_f32 v49, -0.5, v3, v41
	v_sub_f32_e32 v3, v14, v10
	v_sub_f32_e32 v51, v33, v32
	v_add_f32_e32 v38, v63, v38
	v_add_f32_e32 v63, v62, v37
	v_mul_f32_e32 v1, v1, v42
	v_add_f32_e32 v51, v51, v3
	v_add_f32_e32 v3, v32, v10
	v_fma_f32 v63, -0.5, v63, v41
	v_fmac_f32_e32 v28, v6, v44
	v_sub_f32_e32 v6, v15, v11
	v_fma_f32 v0, v0, v43, -v1
	v_add_f32_e32 v1, v4, v8
	v_mov_b32_e32 v50, v49
	v_fma_f32 v53, -0.5, v3, v45
	v_sub_f32_e32 v3, v8, v12
	v_sub_f32_e32 v64, v4, v13
	;; [unrolled: 1-line block ×3, first 2 shown]
	v_mov_b32_e32 v44, v63
	v_fma_f32 v35, -0.5, v1, v0
	v_fmac_f32_e32 v50, 0x3f737871, v6
	v_add_f32_e32 v64, v64, v3
	v_add_f32_e32 v3, v13, v12
	v_fmac_f32_e32 v49, 0xbf737871, v6
	v_fmac_f32_e32 v44, 0xbf737871, v2
	v_sub_f32_e32 v42, v10, v32
	v_mov_b32_e32 v43, v35
	v_fmac_f32_e32 v50, 0xbf167918, v2
	v_fma_f32 v65, -0.5, v3, v0
	v_fmac_f32_e32 v49, 0x3f167918, v2
	v_fmac_f32_e32 v63, 0x3f737871, v2
	v_add_f32_e32 v2, v36, v41
	v_add_f32_e32 v0, v12, v0
	v_fmac_f32_e32 v43, 0xbf737871, v42
	v_sub_f32_e32 v46, v14, v33
	v_fmac_f32_e32 v35, 0x3f737871, v42
	v_add_f32_e32 v2, v37, v2
	v_add_f32_e32 v0, v8, v0
	v_fmac_f32_e32 v43, 0xbf167918, v46
	v_fmac_f32_e32 v35, 0x3f167918, v46
	v_add_f32_e32 v2, v62, v2
	v_add_f32_e32 v0, v4, v0
	v_sub_f32_e32 v30, v12, v13
	v_fmac_f32_e32 v43, 0x3e9e377a, v34
	v_fmac_f32_e32 v35, 0x3e9e377a, v34
	v_add_f32_e32 v34, v39, v2
	v_add_f32_e32 v12, v13, v0
	v_sub_f32_e32 v0, v29, v15
	v_sub_f32_e32 v2, v28, v11
	v_fmac_f32_e32 v44, 0xbf167918, v6
	v_sub_f32_e32 v9, v8, v4
	v_fmac_f32_e32 v63, 0x3f167918, v6
	v_add_f32_e32 v6, v2, v0
	v_sub_f32_e32 v2, v15, v29
	v_sub_f32_e32 v4, v11, v28
	v_add_f32_e32 v4, v4, v2
	v_add_f32_e32 v2, v28, v29
	;; [unrolled: 1-line block ×3, first 2 shown]
	v_sub_f32_e32 v8, v36, v39
	v_fma_f32 v39, -0.5, v2, v40
	v_fmac_f32_e32 v44, 0x3e9e377a, v38
	v_fmac_f32_e32 v63, 0x3e9e377a, v38
	v_fma_f32 v38, -0.5, v0, v40
	v_sub_f32_e32 v13, v37, v62
	v_mov_b32_e32 v41, v39
	v_mov_b32_e32 v36, v38
	v_fmac_f32_e32 v41, 0xbf737871, v13
	v_fmac_f32_e32 v39, 0x3f737871, v13
	v_fmac_f32_e32 v36, 0x3f737871, v8
	v_fmac_f32_e32 v41, 0x3f167918, v8
	v_fmac_f32_e32 v39, 0xbf167918, v8
	v_fmac_f32_e32 v38, 0xbf737871, v8
	v_add_f32_e32 v8, v29, v40
	v_add_f32_e32 v8, v15, v8
	;; [unrolled: 1-line block ×3, first 2 shown]
	v_mov_b32_e32 v31, v48
	v_mov_b32_e32 v54, v53
	v_fmac_f32_e32 v48, 0xbf737871, v30
	v_add_f32_e32 v40, v28, v8
	v_add_f32_e32 v8, v10, v45
	v_fmac_f32_e32 v54, 0xbf737871, v9
	v_mov_b32_e32 v66, v65
	v_fmac_f32_e32 v53, 0x3f737871, v9
	v_fmac_f32_e32 v48, 0xbf167918, v9
	v_add_f32_e32 v8, v14, v8
	v_fmac_f32_e32 v31, 0x3f737871, v30
	v_fmac_f32_e32 v54, 0x3f167918, v30
	;; [unrolled: 1-line block ×6, first 2 shown]
	v_mul_f32_e32 v30, 0x3f4f1bbd, v35
	v_add_f32_e32 v8, v33, v8
	v_fmac_f32_e32 v31, 0x3f167918, v9
	v_fmac_f32_e32 v66, 0xbf167918, v42
	;; [unrolled: 1-line block ×4, first 2 shown]
	v_add_f32_e32 v32, v32, v8
	v_fmac_f32_e32 v31, 0x3e9e377a, v7
	v_fmac_f32_e32 v66, 0x3e9e377a, v64
	;; [unrolled: 1-line block ×3, first 2 shown]
	v_sub_f32_e32 v7, v63, v30
	v_fmac_f32_e32 v38, 0xbf167918, v13
	v_mul_f32_e32 v35, 0xbf167918, v35
	v_sub_f32_e32 v8, v40, v32
	v_add_f32_e32 v29, v63, v30
	v_add_f32_e32 v30, v40, v32
	v_mul_u32_u24_e32 v32, 0x6e, v59
	v_mul_f32_e32 v47, 0xbf4f1bbd, v43
	v_fmac_f32_e32 v54, 0x3e9e377a, v51
	v_mul_f32_e32 v67, 0xbe9e377a, v66
	v_fmac_f32_e32 v53, 0x3e9e377a, v51
	;; [unrolled: 2-line block ×3, first 2 shown]
	v_mul_f32_e32 v37, 0xbf167918, v43
	v_mul_f32_e32 v42, 0xbf737871, v66
	;; [unrolled: 1-line block ×3, first 2 shown]
	v_fmac_f32_e32 v38, 0x3e9e377a, v6
	v_fmac_f32_e32 v35, 0x3f4f1bbd, v48
	v_add_u32_e32 v32, v32, v60
	v_fmac_f32_e32 v47, 0x3f167918, v31
	v_fmac_f32_e32 v50, 0x3e9e377a, v5
	;; [unrolled: 1-line block ×11, first 2 shown]
	v_add_f32_e32 v31, v34, v12
	v_add_f32_e32 v28, v38, v35
	v_lshl_add_u32 v32, v32, 3, v57
	v_sub_f32_e32 v1, v44, v47
	v_sub_f32_e32 v3, v50, v67
	v_sub_f32_e32 v5, v49, v51
	v_sub_f32_e32 v9, v34, v12
	v_sub_f32_e32 v0, v36, v37
	v_sub_f32_e32 v2, v41, v42
	v_sub_f32_e32 v4, v39, v43
	v_sub_f32_e32 v6, v38, v35
	v_add_f32_e32 v11, v44, v47
	v_add_f32_e32 v13, v50, v67
	;; [unrolled: 1-line block ×6, first 2 shown]
	ds_write2_b64 v32, v[30:31], v[28:29] offset1:11
	ds_write2_b64 v32, v[14:15], v[12:13] offset0:22 offset1:33
	ds_write2_b64 v32, v[10:11], v[8:9] offset0:44 offset1:55
	;; [unrolled: 1-line block ×4, first 2 shown]
.LBB0_21:
	s_or_b64 exec, exec, s[12:13]
	s_waitcnt lgkmcnt(0)
	s_barrier
	ds_read2_b64 v[0:3], v58 offset1:110
	v_add_u32_e32 v4, 0x400, v58
	ds_read2_b64 v[4:7], v4 offset0:92 offset1:202
	v_add_u32_e32 v8, 0xc00, v58
	ds_read2_b64 v[8:11], v8 offset0:56 offset1:166
	ds_read_b64 v[12:13], v58 offset:5280
	s_waitcnt lgkmcnt(3)
	v_mul_f32_e32 v14, v25, v3
	v_fmac_f32_e32 v14, v24, v2
	v_mul_f32_e32 v2, v25, v2
	v_fma_f32 v2, v24, v3, -v2
	s_waitcnt lgkmcnt(2)
	v_mul_f32_e32 v3, v27, v5
	v_fmac_f32_e32 v3, v26, v4
	v_mul_f32_e32 v4, v27, v4
	v_fma_f32 v4, v26, v5, -v4
	v_mul_f32_e32 v5, v21, v7
	v_fmac_f32_e32 v5, v20, v6
	v_mul_f32_e32 v6, v21, v6
	v_fma_f32 v6, v20, v7, -v6
	s_waitcnt lgkmcnt(1)
	v_mul_f32_e32 v7, v23, v9
	v_fmac_f32_e32 v7, v22, v8
	v_mul_f32_e32 v8, v23, v8
	v_fma_f32 v8, v22, v9, -v8
	;; [unrolled: 9-line block ×3, first 2 shown]
	v_add_f32_e32 v13, v14, v11
	v_add_f32_e32 v15, v2, v12
	v_sub_f32_e32 v2, v2, v12
	v_add_f32_e32 v12, v3, v9
	v_sub_f32_e32 v11, v14, v11
	v_add_f32_e32 v14, v4, v10
	v_sub_f32_e32 v3, v3, v9
	v_add_f32_e32 v9, v5, v7
	v_sub_f32_e32 v5, v7, v5
	v_add_f32_e32 v7, v12, v13
	v_sub_f32_e32 v4, v4, v10
	v_add_f32_e32 v10, v6, v8
	v_sub_f32_e32 v6, v8, v6
	v_add_f32_e32 v8, v14, v15
	v_add_f32_e32 v7, v9, v7
	;; [unrolled: 1-line block ×4, first 2 shown]
	v_sub_f32_e32 v16, v12, v13
	v_sub_f32_e32 v17, v14, v15
	;; [unrolled: 1-line block ×6, first 2 shown]
	v_add_f32_e32 v18, v5, v3
	v_add_f32_e32 v1, v1, v8
	v_mov_b32_e32 v22, v0
	v_add_f32_e32 v19, v6, v4
	v_sub_f32_e32 v20, v5, v3
	v_sub_f32_e32 v21, v6, v4
	;; [unrolled: 1-line block ×4, first 2 shown]
	v_add_f32_e32 v9, v18, v11
	v_mul_f32_e32 v10, 0x3f4a47b2, v13
	v_mul_f32_e32 v11, 0x3f4a47b2, v15
	;; [unrolled: 1-line block ×4, first 2 shown]
	v_fmac_f32_e32 v22, 0xbf955555, v7
	v_mov_b32_e32 v7, v1
	s_mov_b32 s3, 0x3f3bfb3b
	v_sub_f32_e32 v6, v2, v6
	v_sub_f32_e32 v4, v4, v2
	v_add_f32_e32 v2, v19, v2
	v_mul_f32_e32 v18, 0x3f08b237, v20
	v_mul_f32_e32 v19, 0x3f08b237, v21
	s_mov_b32 s2, 0xbf5ff5aa
	v_fmac_f32_e32 v7, 0xbf955555, v8
	v_fma_f32 v8, v16, s3, -v13
	v_fma_f32 v13, v17, s3, -v15
	s_mov_b32 s3, 0xbf3bfb3b
	v_mul_f32_e32 v20, 0xbf5ff5aa, v3
	v_mul_f32_e32 v21, 0xbf5ff5aa, v4
	v_fma_f32 v15, v16, s3, -v10
	v_fmac_f32_e32 v10, 0x3d64c772, v12
	v_fma_f32 v12, v17, s3, -v11
	v_fmac_f32_e32 v11, 0x3d64c772, v14
	;; [unrolled: 2-line block ×4, first 2 shown]
	s_mov_b32 s2, 0x3eae86e6
	v_fma_f32 v17, v5, s2, -v20
	v_fma_f32 v20, v6, s2, -v21
	v_add_f32_e32 v21, v10, v22
	v_add_f32_e32 v23, v11, v7
	v_fmac_f32_e32 v18, 0xbee1c552, v9
	v_fmac_f32_e32 v19, 0xbee1c552, v2
	v_add_f32_e32 v8, v8, v22
	v_add_f32_e32 v10, v13, v7
	;; [unrolled: 1-line block ×4, first 2 shown]
	v_fmac_f32_e32 v14, 0xbee1c552, v9
	v_fmac_f32_e32 v16, 0xbee1c552, v2
	;; [unrolled: 1-line block ×4, first 2 shown]
	v_add_f32_e32 v2, v19, v21
	v_sub_f32_e32 v3, v23, v18
	v_add_f32_e32 v4, v20, v11
	v_sub_f32_e32 v5, v12, v17
	v_sub_f32_e32 v6, v8, v16
	v_add_f32_e32 v7, v14, v10
	v_add_f32_e32 v8, v16, v8
	v_sub_f32_e32 v9, v10, v14
	v_sub_f32_e32 v10, v11, v20
	v_add_f32_e32 v11, v17, v12
	ds_write2_b64 v61, v[0:1], v[2:3] offset1:110
	v_add_u32_e32 v1, 0x400, v61
	v_add_u32_e32 v0, 0xc00, v61
	v_sub_f32_e32 v12, v21, v19
	v_add_f32_e32 v13, v18, v23
	ds_write2_b64 v1, v[4:5], v[6:7] offset0:92 offset1:202
	ds_write2_b64 v0, v[8:9], v[10:11] offset0:56 offset1:166
	ds_write_b64 v61, v[12:13] offset:5280
	s_waitcnt lgkmcnt(0)
	s_barrier
	s_and_b64 exec, exec, s[0:1]
	s_cbranch_execz .LBB0_23
; %bb.22:
	global_load_dwordx2 v[10:11], v56, s[10:11]
	global_load_dwordx2 v[12:13], v56, s[10:11] offset:560
	global_load_dwordx2 v[14:15], v56, s[10:11] offset:1120
	;; [unrolled: 1-line block ×3, first 2 shown]
	ds_read_b64 v[20:21], v61
	ds_read2_b64 v[2:5], v61 offset0:70 offset1:140
	ds_read2_b64 v[6:9], v1 offset0:82 offset1:152
	global_load_dwordx2 v[24:25], v56, s[10:11] offset:2240
	global_load_dwordx2 v[26:27], v56, s[10:11] offset:2800
	;; [unrolled: 1-line block ×4, first 2 shown]
	v_mad_u64_u32 v[18:19], s[0:1], s6, v52, 0
	v_mov_b32_e32 v32, s11
	v_mad_u64_u32 v[22:23], s[2:3], s4, v55, 0
	v_add_co_u32_e32 v1, vcc, s10, v56
	s_mul_hi_u32 s6, s4, 0x230
	s_mul_i32 s2, s4, 0x230
	s_movk_i32 s4, 0x1000
	v_addc_co_u32_e32 v33, vcc, 0, v32, vcc
	s_mul_i32 s3, s5, 0x230
	v_add_co_u32_e32 v32, vcc, s4, v1
	v_mov_b32_e32 v1, v19
	s_add_i32 s3, s6, s3
	s_waitcnt lgkmcnt(1)
	v_mad_u64_u32 v[34:35], s[6:7], s7, v52, v[1:2]
	v_mov_b32_e32 v19, v23
	v_addc_co_u32_e32 v33, vcc, 0, v33, vcc
	v_mad_u64_u32 v[35:36], s[4:5], s5, v55, v[19:20]
	global_load_dwordx2 v[36:37], v[32:33], off offset:384
	global_load_dwordx2 v[38:39], v[32:33], off offset:944
	;; [unrolled: 1-line block ×3, first 2 shown]
	v_mov_b32_e32 v19, v34
	v_lshlrev_b64 v[18:19], 3, v[18:19]
	v_mov_b32_e32 v23, v35
	v_mov_b32_e32 v42, s9
	v_lshlrev_b64 v[22:23], 3, v[22:23]
	v_add_co_u32_e32 v1, vcc, s8, v18
	v_addc_co_u32_e32 v19, vcc, v42, v19, vcc
	v_add_co_u32_e32 v18, vcc, v1, v22
	s_mov_b32 s0, 0xe6bb82fe
	s_mov_b32 s1, 0x3f554725
	v_addc_co_u32_e32 v19, vcc, v19, v23, vcc
	v_mov_b32_e32 v43, s3
	v_add_co_u32_e32 v22, vcc, s2, v18
	v_addc_co_u32_e32 v23, vcc, v19, v43, vcc
	v_mov_b32_e32 v44, s3
	s_waitcnt vmcnt(10)
	v_mul_f32_e32 v1, v21, v11
	v_mul_f32_e32 v11, v20, v11
	s_waitcnt vmcnt(9)
	v_mul_f32_e32 v32, v3, v13
	v_mul_f32_e32 v13, v2, v13
	s_waitcnt vmcnt(8)
	v_mul_f32_e32 v33, v5, v15
	v_fmac_f32_e32 v1, v20, v10
	v_fma_f32 v10, v10, v21, -v11
	v_mul_f32_e32 v15, v4, v15
	s_waitcnt vmcnt(7) lgkmcnt(0)
	v_mul_f32_e32 v34, v7, v17
	v_fmac_f32_e32 v32, v2, v12
	v_fma_f32 v11, v12, v3, -v13
	v_fmac_f32_e32 v33, v4, v14
	v_cvt_f64_f32_e32 v[1:2], v1
	v_cvt_f64_f32_e32 v[3:4], v10
	v_mul_f32_e32 v17, v6, v17
	v_fma_f32 v14, v14, v5, -v15
	v_fmac_f32_e32 v34, v6, v16
	v_cvt_f64_f32_e32 v[5:6], v32
	v_cvt_f64_f32_e32 v[10:11], v11
	v_mul_f64 v[1:2], v[1:2], s[0:1]
	v_mul_f64 v[3:4], v[3:4], s[0:1]
	;; [unrolled: 1-line block ×4, first 2 shown]
	v_cvt_f64_f32_e32 v[12:13], v33
	v_cvt_f64_f32_e32 v[14:15], v14
	v_fma_f32 v7, v16, v7, -v17
	v_cvt_f64_f32_e32 v[20:21], v7
	v_mul_f64 v[12:13], v[12:13], s[0:1]
	v_mul_f64 v[14:15], v[14:15], s[0:1]
	v_cvt_f32_f64_e32 v1, v[1:2]
	v_cvt_f32_f64_e32 v2, v[3:4]
	;; [unrolled: 1-line block ×4, first 2 shown]
	v_cvt_f64_f32_e32 v[16:17], v34
	global_store_dwordx2 v[18:19], v[1:2], off
	global_store_dwordx2 v[22:23], v[3:4], off
	v_mul_f64 v[1:2], v[20:21], s[0:1]
	v_mul_f64 v[16:17], v[16:17], s[0:1]
	v_cvt_f32_f64_e32 v5, v[12:13]
	v_cvt_f32_f64_e32 v6, v[14:15]
	s_waitcnt vmcnt(8)
	v_mul_f32_e32 v3, v9, v25
	v_add_co_u32_e32 v10, vcc, s2, v22
	v_fmac_f32_e32 v3, v8, v24
	v_addc_co_u32_e32 v11, vcc, v23, v44, vcc
	v_cvt_f64_f32_e32 v[3:4], v3
	global_store_dwordx2 v[10:11], v[5:6], off
	v_mul_f32_e32 v6, v8, v25
	v_fma_f32 v6, v24, v9, -v6
	v_cvt_f64_f32_e32 v[7:8], v6
	v_cvt_f32_f64_e32 v6, v[1:2]
	v_add_u32_e32 v1, 0x800, v61
	v_mul_f64 v[12:13], v[3:4], s[0:1]
	ds_read2_b64 v[1:4], v1 offset0:94 offset1:164
	v_cvt_f32_f64_e32 v5, v[16:17]
	v_mov_b32_e32 v14, s3
	v_add_co_u32_e32 v9, vcc, s2, v10
	v_addc_co_u32_e32 v10, vcc, v11, v14, vcc
	global_store_dwordx2 v[9:10], v[5:6], off
	s_waitcnt vmcnt(9) lgkmcnt(0)
	v_mul_f32_e32 v5, v2, v27
	v_fmac_f32_e32 v5, v1, v26
	v_cvt_f64_f32_e32 v[5:6], v5
	v_mul_f32_e32 v1, v1, v27
	v_fma_f32 v1, v26, v2, -v1
	v_mul_f64 v[7:8], v[7:8], s[0:1]
	v_mul_f64 v[5:6], v[5:6], s[0:1]
	v_cvt_f64_f32_e32 v[1:2], v1
	v_cvt_f32_f64_e32 v11, v[12:13]
	v_mov_b32_e32 v13, s3
	v_mul_f64 v[1:2], v[1:2], s[0:1]
	v_cvt_f32_f64_e32 v12, v[7:8]
	v_cvt_f32_f64_e32 v5, v[5:6]
	s_waitcnt vmcnt(8)
	v_mul_f32_e32 v6, v4, v29
	v_fmac_f32_e32 v6, v3, v28
	v_mul_f32_e32 v3, v3, v29
	v_fma_f32 v3, v28, v4, -v3
	v_cvt_f64_f32_e32 v[3:4], v3
	v_mov_b32_e32 v8, s3
	v_add_co_u32_e32 v7, vcc, s2, v9
	v_addc_co_u32_e32 v8, vcc, v10, v8, vcc
	global_store_dwordx2 v[7:8], v[11:12], off
	v_cvt_f64_f32_e32 v[9:10], v6
	v_cvt_f32_f64_e32 v6, v[1:2]
	v_mul_f64 v[11:12], v[3:4], s[0:1]
	ds_read2_b64 v[0:3], v0 offset0:106 offset1:176
	v_add_co_u32_e32 v7, vcc, s2, v7
	v_addc_co_u32_e32 v8, vcc, v8, v13, vcc
	s_waitcnt vmcnt(8) lgkmcnt(0)
	v_mul_f32_e32 v4, v1, v31
	v_fmac_f32_e32 v4, v0, v30
	global_store_dwordx2 v[7:8], v[5:6], off
	v_cvt_f64_f32_e32 v[4:5], v4
	v_mul_f64 v[9:10], v[9:10], s[0:1]
	v_mul_f32_e32 v0, v0, v31
	v_fma_f32 v0, v30, v1, -v0
	v_mul_f64 v[4:5], v[4:5], s[0:1]
	v_cvt_f64_f32_e32 v[0:1], v0
	v_add_co_u32_e32 v6, vcc, s2, v7
	v_cvt_f32_f64_e32 v9, v[9:10]
	v_cvt_f32_f64_e32 v10, v[11:12]
	v_mul_f64 v[0:1], v[0:1], s[0:1]
	v_mov_b32_e32 v11, s3
	v_cvt_f32_f64_e32 v4, v[4:5]
	s_waitcnt vmcnt(8)
	v_mul_f32_e32 v5, v3, v37
	v_addc_co_u32_e32 v7, vcc, v8, v11, vcc
	v_fmac_f32_e32 v5, v2, v36
	global_store_dwordx2 v[6:7], v[9:10], off
	v_cvt_f64_f32_e32 v[8:9], v5
	v_mul_f32_e32 v2, v2, v37
	v_fma_f32 v2, v36, v3, -v2
	v_cvt_f64_f32_e32 v[2:3], v2
	v_mul_f64 v[8:9], v[8:9], s[0:1]
	v_cvt_f32_f64_e32 v5, v[0:1]
	v_mov_b32_e32 v0, s3
	v_add_co_u32_e32 v6, vcc, s2, v6
	v_addc_co_u32_e32 v7, vcc, v7, v0, vcc
	v_add_u32_e32 v0, 0x1000, v61
	v_mul_f64 v[10:11], v[2:3], s[0:1]
	ds_read2_b64 v[0:3], v0 offset0:118 offset1:188
	global_store_dwordx2 v[6:7], v[4:5], off
	v_cvt_f32_f64_e32 v4, v[8:9]
	v_add_co_u32_e32 v6, vcc, s2, v6
	s_waitcnt vmcnt(9) lgkmcnt(0)
	v_mul_f32_e32 v8, v1, v39
	v_fmac_f32_e32 v8, v0, v38
	v_mul_f32_e32 v0, v0, v39
	v_fma_f32 v0, v38, v1, -v0
	v_cvt_f32_f64_e32 v5, v[10:11]
	v_cvt_f64_f32_e32 v[8:9], v8
	v_cvt_f64_f32_e32 v[0:1], v0
	v_mov_b32_e32 v10, s3
	v_addc_co_u32_e32 v7, vcc, v7, v10, vcc
	global_store_dwordx2 v[6:7], v[4:5], off
	v_mul_f64 v[4:5], v[8:9], s[0:1]
	v_mul_f64 v[0:1], v[0:1], s[0:1]
	s_waitcnt vmcnt(9)
	v_mul_f32_e32 v8, v3, v41
	v_fmac_f32_e32 v8, v2, v40
	v_mul_f32_e32 v2, v2, v41
	v_fma_f32 v2, v40, v3, -v2
	v_cvt_f64_f32_e32 v[8:9], v8
	v_cvt_f64_f32_e32 v[2:3], v2
	v_cvt_f32_f64_e32 v4, v[4:5]
	v_cvt_f32_f64_e32 v5, v[0:1]
	v_mul_f64 v[0:1], v[8:9], s[0:1]
	v_mul_f64 v[2:3], v[2:3], s[0:1]
	v_mov_b32_e32 v8, s3
	v_add_co_u32_e32 v6, vcc, s2, v6
	v_addc_co_u32_e32 v7, vcc, v7, v8, vcc
	global_store_dwordx2 v[6:7], v[4:5], off
	v_cvt_f32_f64_e32 v0, v[0:1]
	v_cvt_f32_f64_e32 v1, v[2:3]
	v_mov_b32_e32 v3, s3
	v_add_co_u32_e32 v2, vcc, s2, v6
	v_addc_co_u32_e32 v3, vcc, v7, v3, vcc
	global_store_dwordx2 v[2:3], v[0:1], off
.LBB0_23:
	s_endpgm
	.section	.rodata,"a",@progbits
	.p2align	6, 0x0
	.amdhsa_kernel bluestein_single_fwd_len770_dim1_sp_op_CI_CI
		.amdhsa_group_segment_fixed_size 12320
		.amdhsa_private_segment_fixed_size 0
		.amdhsa_kernarg_size 104
		.amdhsa_user_sgpr_count 6
		.amdhsa_user_sgpr_private_segment_buffer 1
		.amdhsa_user_sgpr_dispatch_ptr 0
		.amdhsa_user_sgpr_queue_ptr 0
		.amdhsa_user_sgpr_kernarg_segment_ptr 1
		.amdhsa_user_sgpr_dispatch_id 0
		.amdhsa_user_sgpr_flat_scratch_init 0
		.amdhsa_user_sgpr_private_segment_size 0
		.amdhsa_uses_dynamic_stack 0
		.amdhsa_system_sgpr_private_segment_wavefront_offset 0
		.amdhsa_system_sgpr_workgroup_id_x 1
		.amdhsa_system_sgpr_workgroup_id_y 0
		.amdhsa_system_sgpr_workgroup_id_z 0
		.amdhsa_system_sgpr_workgroup_info 0
		.amdhsa_system_vgpr_workitem_id 0
		.amdhsa_next_free_vgpr 93
		.amdhsa_next_free_sgpr 18
		.amdhsa_reserve_vcc 1
		.amdhsa_reserve_flat_scratch 0
		.amdhsa_float_round_mode_32 0
		.amdhsa_float_round_mode_16_64 0
		.amdhsa_float_denorm_mode_32 3
		.amdhsa_float_denorm_mode_16_64 3
		.amdhsa_dx10_clamp 1
		.amdhsa_ieee_mode 1
		.amdhsa_fp16_overflow 0
		.amdhsa_exception_fp_ieee_invalid_op 0
		.amdhsa_exception_fp_denorm_src 0
		.amdhsa_exception_fp_ieee_div_zero 0
		.amdhsa_exception_fp_ieee_overflow 0
		.amdhsa_exception_fp_ieee_underflow 0
		.amdhsa_exception_fp_ieee_inexact 0
		.amdhsa_exception_int_div_zero 0
	.end_amdhsa_kernel
	.text
.Lfunc_end0:
	.size	bluestein_single_fwd_len770_dim1_sp_op_CI_CI, .Lfunc_end0-bluestein_single_fwd_len770_dim1_sp_op_CI_CI
                                        ; -- End function
	.section	.AMDGPU.csdata,"",@progbits
; Kernel info:
; codeLenInByte = 11132
; NumSgprs: 22
; NumVgprs: 93
; ScratchSize: 0
; MemoryBound: 0
; FloatMode: 240
; IeeeMode: 1
; LDSByteSize: 12320 bytes/workgroup (compile time only)
; SGPRBlocks: 2
; VGPRBlocks: 23
; NumSGPRsForWavesPerEU: 22
; NumVGPRsForWavesPerEU: 93
; Occupancy: 2
; WaveLimiterHint : 1
; COMPUTE_PGM_RSRC2:SCRATCH_EN: 0
; COMPUTE_PGM_RSRC2:USER_SGPR: 6
; COMPUTE_PGM_RSRC2:TRAP_HANDLER: 0
; COMPUTE_PGM_RSRC2:TGID_X_EN: 1
; COMPUTE_PGM_RSRC2:TGID_Y_EN: 0
; COMPUTE_PGM_RSRC2:TGID_Z_EN: 0
; COMPUTE_PGM_RSRC2:TIDIG_COMP_CNT: 0
	.type	__hip_cuid_3c042005c8926e0,@object ; @__hip_cuid_3c042005c8926e0
	.section	.bss,"aw",@nobits
	.globl	__hip_cuid_3c042005c8926e0
__hip_cuid_3c042005c8926e0:
	.byte	0                               ; 0x0
	.size	__hip_cuid_3c042005c8926e0, 1

	.ident	"AMD clang version 19.0.0git (https://github.com/RadeonOpenCompute/llvm-project roc-6.4.0 25133 c7fe45cf4b819c5991fe208aaa96edf142730f1d)"
	.section	".note.GNU-stack","",@progbits
	.addrsig
	.addrsig_sym __hip_cuid_3c042005c8926e0
	.amdgpu_metadata
---
amdhsa.kernels:
  - .args:
      - .actual_access:  read_only
        .address_space:  global
        .offset:         0
        .size:           8
        .value_kind:     global_buffer
      - .actual_access:  read_only
        .address_space:  global
        .offset:         8
        .size:           8
        .value_kind:     global_buffer
      - .actual_access:  read_only
        .address_space:  global
        .offset:         16
        .size:           8
        .value_kind:     global_buffer
      - .actual_access:  read_only
        .address_space:  global
        .offset:         24
        .size:           8
        .value_kind:     global_buffer
      - .actual_access:  read_only
        .address_space:  global
        .offset:         32
        .size:           8
        .value_kind:     global_buffer
      - .offset:         40
        .size:           8
        .value_kind:     by_value
      - .address_space:  global
        .offset:         48
        .size:           8
        .value_kind:     global_buffer
      - .address_space:  global
        .offset:         56
        .size:           8
        .value_kind:     global_buffer
      - .address_space:  global
        .offset:         64
        .size:           8
        .value_kind:     global_buffer
      - .address_space:  global
        .offset:         72
        .size:           8
        .value_kind:     global_buffer
      - .offset:         80
        .size:           4
        .value_kind:     by_value
      - .address_space:  global
        .offset:         88
        .size:           8
        .value_kind:     global_buffer
      - .address_space:  global
        .offset:         96
        .size:           8
        .value_kind:     global_buffer
    .group_segment_fixed_size: 12320
    .kernarg_segment_align: 8
    .kernarg_segment_size: 104
    .language:       OpenCL C
    .language_version:
      - 2
      - 0
    .max_flat_workgroup_size: 220
    .name:           bluestein_single_fwd_len770_dim1_sp_op_CI_CI
    .private_segment_fixed_size: 0
    .sgpr_count:     22
    .sgpr_spill_count: 0
    .symbol:         bluestein_single_fwd_len770_dim1_sp_op_CI_CI.kd
    .uniform_work_group_size: 1
    .uses_dynamic_stack: false
    .vgpr_count:     93
    .vgpr_spill_count: 0
    .wavefront_size: 64
amdhsa.target:   amdgcn-amd-amdhsa--gfx906
amdhsa.version:
  - 1
  - 2
...

	.end_amdgpu_metadata
